;; amdgpu-corpus repo=ROCm/rocFFT kind=compiled arch=gfx1030 opt=O3
	.text
	.amdgcn_target "amdgcn-amd-amdhsa--gfx1030"
	.amdhsa_code_object_version 6
	.protected	bluestein_single_fwd_len936_dim1_dp_op_CI_CI ; -- Begin function bluestein_single_fwd_len936_dim1_dp_op_CI_CI
	.globl	bluestein_single_fwd_len936_dim1_dp_op_CI_CI
	.p2align	8
	.type	bluestein_single_fwd_len936_dim1_dp_op_CI_CI,@function
bluestein_single_fwd_len936_dim1_dp_op_CI_CI: ; @bluestein_single_fwd_len936_dim1_dp_op_CI_CI
; %bb.0:
	s_load_dwordx4 s[8:11], s[4:5], 0x28
	v_mul_u32_u24_e32 v1, 0x349, v0
	s_mov_b64 s[50:51], s[2:3]
	s_mov_b64 s[48:49], s[0:1]
	s_add_u32 s48, s48, s7
	v_lshrrev_b32_e32 v1, 16, v1
	s_addc_u32 s49, s49, 0
	v_mad_u64_u32 v[78:79], null, s6, 3, v[1:2]
	v_mov_b32_e32 v79, 0
                                        ; kill: def $vgpr2 killed $sgpr0 killed $exec
	s_mov_b32 s0, exec_lo
	s_waitcnt lgkmcnt(0)
	v_cmpx_gt_u64_e64 s[8:9], v[78:79]
	s_cbranch_execz .LBB0_10
; %bb.1:
	s_clause 0x1
	s_load_dwordx4 s[0:3], s[4:5], 0x18
	s_load_dwordx4 s[12:15], s[4:5], 0x0
	v_mul_lo_u16 v1, 0x4e, v1
	v_sub_nc_u16 v0, v0, v1
	v_and_b32_e32 v255, 0xffff, v0
	v_lshlrev_b32_e32 v23, 4, v255
	s_waitcnt lgkmcnt(0)
	s_load_dwordx4 s[16:19], s[0:1], 0x0
	s_clause 0x1
	global_load_dwordx4 v[25:28], v23, s[12:13]
	global_load_dwordx4 v[29:32], v23, s[12:13] offset:1248
	v_add_co_u32 v13, s0, s12, v23
	v_add_co_ci_u32_e64 v14, null, s13, 0, s0
	v_add_co_u32 v21, vcc_lo, 0x1800, v13
	v_add_co_ci_u32_e32 v22, vcc_lo, 0, v14, vcc_lo
	v_add_co_u32 v1, vcc_lo, 0x2000, v13
	v_add_co_ci_u32_e32 v2, vcc_lo, 0, v14, vcc_lo
	;; [unrolled: 2-line block ×3, first 2 shown]
	s_waitcnt lgkmcnt(0)
	v_mad_u64_u32 v[5:6], null, s18, v78, 0
	v_add_co_u32 v7, vcc_lo, 0x2800, v13
	v_add_co_ci_u32_e32 v8, vcc_lo, 0, v14, vcc_lo
	v_add_co_u32 v11, vcc_lo, 0x1000, v13
	v_mad_u64_u32 v[9:10], null, s16, v255, 0
	v_add_co_ci_u32_e32 v12, vcc_lo, 0, v14, vcc_lo
	v_add_co_u32 v44, vcc_lo, 0x3000, v13
	v_add_co_ci_u32_e32 v45, vcc_lo, 0, v14, vcc_lo
	v_mad_u64_u32 v[13:14], null, s19, v78, v[6:7]
	s_clause 0x2
	global_load_dwordx4 v[144:147], v[21:22], off offset:1344
	global_load_dwordx4 v[140:143], v[1:2], off offset:544
	;; [unrolled: 1-line block ×3, first 2 shown]
	v_mad_u64_u32 v[1:2], null, s17, v255, v[10:11]
	s_clause 0x2
	global_load_dwordx4 v[128:131], v[3:4], off offset:448
	global_load_dwordx4 v[124:127], v[3:4], off offset:1696
	;; [unrolled: 1-line block ×3, first 2 shown]
	s_mul_i32 s0, s17, 0x1d40
	v_mov_b32_e32 v6, v13
	s_mul_hi_u32 s1, s16, 0x1d40
	s_mul_i32 s6, s16, 0x1d40
	s_add_i32 s1, s1, s0
	v_mov_b32_e32 v10, v1
	v_lshlrev_b64 v[1:2], 4, v[5:6]
	s_mul_hi_u32 s8, s16, 0xffffe7a0
	s_mul_i32 s7, s17, 0xffffe7a0
	s_mul_i32 s9, s16, 0xffffe7a0
	v_lshlrev_b64 v[3:4], 4, v[9:10]
	s_sub_i32 s0, s8, s16
	v_add_co_u32 v1, vcc_lo, s10, v1
	v_add_co_ci_u32_e32 v2, vcc_lo, s11, v2, vcc_lo
	s_add_i32 s0, s0, s7
	v_add_co_u32 v1, vcc_lo, v1, v3
	v_add_co_ci_u32_e32 v2, vcc_lo, v2, v4, vcc_lo
	s_clause 0x1
	global_load_dwordx4 v[132:135], v[11:12], off offset:896
	global_load_dwordx4 v[136:139], v[44:45], off offset:192
	v_add_co_u32 v5, vcc_lo, v1, s6
	v_add_co_ci_u32_e32 v6, vcc_lo, s1, v2, vcc_lo
	v_add_co_u32 v9, vcc_lo, v5, s9
	v_add_co_ci_u32_e32 v10, vcc_lo, s0, v6, vcc_lo
	s_clause 0x1
	global_load_dwordx4 v[1:4], v[1:2], off
	global_load_dwordx4 v[5:8], v[5:6], off
	v_add_co_u32 v13, vcc_lo, v9, s6
	v_add_co_ci_u32_e32 v14, vcc_lo, s1, v10, vcc_lo
	v_add_co_u32 v17, vcc_lo, v13, s9
	v_add_co_ci_u32_e32 v18, vcc_lo, s0, v14, vcc_lo
	s_clause 0x1
	global_load_dwordx4 v[9:12], v[9:10], off
	global_load_dwordx4 v[13:16], v[13:14], off
	v_add_co_u32 v40, vcc_lo, v17, s6
	v_add_co_ci_u32_e32 v41, vcc_lo, s1, v18, vcc_lo
	global_load_dwordx4 v[17:20], v[17:18], off
	v_add_co_u32 v42, vcc_lo, v40, s9
	v_add_co_ci_u32_e32 v43, vcc_lo, s0, v41, vcc_lo
	;; [unrolled: 3-line block ×6, first 2 shown]
	v_add_co_u32 v72, vcc_lo, v46, s6
	v_add_co_ci_u32_e32 v73, vcc_lo, s1, v47, vcc_lo
	global_load_dwordx4 v[64:67], v[42:43], off
	global_load_dwordx4 v[37:40], v[21:22], off offset:96
	global_load_dwordx4 v[68:71], v[46:47], off
	global_load_dwordx4 v[41:44], v[44:45], off offset:1440
	global_load_dwordx4 v[72:75], v[72:73], off
	v_mul_hi_u32 v21, 0xaaaaaaab, v78
	v_mov_b32_e32 v45, v78
	buffer_store_dword v45, off, s[48:51], 0 offset:192 ; 4-byte Folded Spill
	buffer_store_dword v46, off, s[48:51], 0 offset:196 ; 4-byte Folded Spill
	v_cmp_gt_u16_e32 vcc_lo, 0x48, v0
	v_lshrrev_b32_e32 v24, 1, v21
	v_lshlrev_b32_e32 v45, 1, v255
	v_lshl_add_u32 v24, v24, 1, v24
	v_sub_nc_u32_e32 v24, v78, v24
	v_mul_u32_u24_e32 v24, 0x3a8, v24
	s_waitcnt vmcnt(13)
	v_mul_f64 v[21:22], v[3:4], v[27:28]
	v_mul_f64 v[76:77], v[1:2], v[27:28]
	s_waitcnt vmcnt(12)
	v_mul_f64 v[78:79], v[7:8], v[146:147]
	v_mul_f64 v[80:81], v[5:6], v[146:147]
	s_waitcnt vmcnt(11)
	v_mul_f64 v[82:83], v[11:12], v[31:32]
	s_waitcnt vmcnt(10)
	v_mul_f64 v[86:87], v[15:16], v[142:143]
	v_mul_f64 v[84:85], v[9:10], v[31:32]
	;; [unrolled: 1-line block ×3, first 2 shown]
	s_waitcnt vmcnt(9)
	v_mul_f64 v[90:91], v[19:20], v[130:131]
	v_mul_f64 v[92:93], v[17:18], v[130:131]
	s_waitcnt vmcnt(8)
	v_mul_f64 v[94:95], v[48:49], v[35:36]
	v_fma_f64 v[1:2], v[1:2], v[25:26], v[21:22]
	buffer_store_dword v25, off, s[48:51], 0 ; 4-byte Folded Spill
	buffer_store_dword v26, off, s[48:51], 0 offset:4 ; 4-byte Folded Spill
	buffer_store_dword v27, off, s[48:51], 0 offset:8 ; 4-byte Folded Spill
	;; [unrolled: 1-line block ×3, first 2 shown]
	v_mul_f64 v[21:22], v[50:51], v[35:36]
	v_fma_f64 v[5:6], v[5:6], v[144:145], v[78:79]
	s_waitcnt vmcnt(7)
	v_mul_f64 v[96:97], v[54:55], v[126:127]
	buffer_store_dword v144, off, s[48:51], 0 offset:144 ; 4-byte Folded Spill
	buffer_store_dword v145, off, s[48:51], 0 offset:148 ; 4-byte Folded Spill
	;; [unrolled: 1-line block ×4, first 2 shown]
	v_mul_f64 v[98:99], v[52:53], v[126:127]
	s_waitcnt vmcnt(6)
	v_mul_f64 v[100:101], v[58:59], v[122:123]
	v_fma_f64 v[9:10], v[9:10], v[29:30], v[82:83]
	buffer_store_dword v29, off, s[48:51], 0 offset:16 ; 4-byte Folded Spill
	buffer_store_dword v30, off, s[48:51], 0 offset:20 ; 4-byte Folded Spill
	;; [unrolled: 1-line block ×4, first 2 shown]
	v_fma_f64 v[13:14], v[13:14], v[140:141], v[86:87]
	buffer_store_dword v140, off, s[48:51], 0 offset:128 ; 4-byte Folded Spill
	buffer_store_dword v141, off, s[48:51], 0 offset:132 ; 4-byte Folded Spill
	;; [unrolled: 1-line block ×4, first 2 shown]
	s_waitcnt vmcnt(5)
	v_mul_f64 v[104:105], v[62:63], v[134:135]
	v_mul_f64 v[102:103], v[56:57], v[122:123]
	;; [unrolled: 1-line block ×3, first 2 shown]
	s_waitcnt vmcnt(4)
	v_mul_f64 v[108:109], v[66:67], v[138:139]
	v_mul_f64 v[110:111], v[64:65], v[138:139]
	s_waitcnt vmcnt(2)
	v_mul_f64 v[112:113], v[70:71], v[39:40]
	v_mul_f64 v[114:115], v[68:69], v[39:40]
	s_waitcnt vmcnt(0)
	v_mul_f64 v[116:117], v[74:75], v[43:44]
	v_fma_f64 v[48:49], v[48:49], v[33:34], v[21:22]
	v_fma_f64 v[52:53], v[52:53], v[124:125], v[96:97]
	v_mul_f64 v[118:119], v[72:73], v[43:44]
	v_lshlrev_b32_e32 v21, 4, v24
	v_add_co_u32 v22, null, 0xea, v255
	v_fma_f64 v[56:57], v[56:57], v[120:121], v[100:101]
	v_fma_f64 v[60:61], v[60:61], v[132:133], v[104:105]
	;; [unrolled: 1-line block ×5, first 2 shown]
                                        ; implicit-def: $vgpr116_vgpr117
	v_fma_f64 v[3:4], v[3:4], v[25:26], -v[76:77]
	v_fma_f64 v[76:77], v[17:18], v[128:129], v[90:91]
	buffer_store_dword v128, off, s[48:51], 0 offset:80 ; 4-byte Folded Spill
	buffer_store_dword v129, off, s[48:51], 0 offset:84 ; 4-byte Folded Spill
	;; [unrolled: 1-line block ×32, first 2 shown]
	v_fma_f64 v[7:8], v[7:8], v[144:145], -v[80:81]
	v_fma_f64 v[11:12], v[11:12], v[29:30], -v[84:85]
	;; [unrolled: 1-line block ×3, first 2 shown]
	s_load_dwordx4 s[8:11], s[2:3], 0x0
	v_lshl_add_u32 v44, v255, 5, v21
	s_load_dwordx2 s[2:3], s[4:5], 0x38
	v_fma_f64 v[78:79], v[19:20], v[128:129], -v[92:93]
	v_fma_f64 v[50:51], v[50:51], v[33:34], -v[94:95]
	;; [unrolled: 1-line block ×8, first 2 shown]
	v_add_nc_u32_e32 v20, v23, v21
	ds_write_b128 v20, v[1:4]
	ds_write_b128 v20, v[5:8] offset:7488
	ds_write_b128 v20, v[9:12] offset:1248
	;; [unrolled: 1-line block ×11, first 2 shown]
	s_waitcnt lgkmcnt(0)
	s_waitcnt_vscnt null, 0x0
	s_barrier
	buffer_gl0_inv
	ds_read_b128 v[1:4], v20 offset:7488
	ds_read_b128 v[5:8], v20
	ds_read_b128 v[9:12], v20 offset:1248
	ds_read_b128 v[13:16], v20 offset:8736
	ds_read_b128 v[48:51], v20 offset:9984
	ds_read_b128 v[52:55], v20 offset:2496
	ds_read_b128 v[56:59], v20 offset:3744
	ds_read_b128 v[60:63], v20 offset:11232
	ds_read_b128 v[64:67], v20 offset:12480
	ds_read_b128 v[68:71], v20 offset:4992
	ds_read_b128 v[72:75], v20 offset:6240
	ds_read_b128 v[76:79], v20 offset:13728
	v_add_co_u32 v23, s0, 0x4e, v255
	v_add_co_ci_u32_e64 v221, null, 0, 0, s0
	v_add_co_u32 v216, s0, 0x9c, v255
	v_add_co_ci_u32_e64 v17, null, 0, 0, s0
	v_add_co_u32 v219, s0, 0x138, v255
	s_waitcnt lgkmcnt(10)
	v_add_f64 v[1:2], v[5:6], -v[1:2]
	v_add_f64 v[3:4], v[7:8], -v[3:4]
	s_waitcnt lgkmcnt(8)
	v_add_f64 v[13:14], v[9:10], -v[13:14]
	v_add_f64 v[15:16], v[11:12], -v[15:16]
	;; [unrolled: 3-line block ×6, first 2 shown]
	v_and_b32_e32 v19, 1, v255
	v_add_co_ci_u32_e64 v17, null, 0, 0, s0
	v_add_co_u32 v220, s0, 0x186, v255
	v_add_co_ci_u32_e64 v17, null, 0, 0, s0
	v_lshlrev_b32_e32 v17, 4, v19
	v_lshl_add_u32 v43, v23, 5, v21
	v_lshl_add_u32 v42, v216, 5, v21
	v_fma_f64 v[5:6], v[5:6], 2.0, -v[1:2]
	v_fma_f64 v[7:8], v[7:8], 2.0, -v[3:4]
	;; [unrolled: 1-line block ×12, first 2 shown]
	v_lshl_add_u32 v41, v22, 5, v21
	v_lshl_add_u32 v40, v219, 5, v21
	;; [unrolled: 1-line block ×3, first 2 shown]
	s_barrier
	buffer_gl0_inv
	ds_write_b128 v44, v[1:4] offset:16
	ds_write_b128 v44, v[5:8]
	ds_write_b128 v43, v[9:12]
	ds_write_b128 v43, v[13:16] offset:16
	ds_write_b128 v42, v[52:55]
	ds_write_b128 v42, v[48:51] offset:16
	;; [unrolled: 2-line block ×5, first 2 shown]
	s_waitcnt lgkmcnt(0)
	s_barrier
	buffer_gl0_inv
	global_load_dwordx4 v[92:95], v17, s[14:15]
	ds_read_b128 v[1:4], v20 offset:7488
	ds_read_b128 v[5:8], v20 offset:8736
	;; [unrolled: 1-line block ×6, first 2 shown]
	ds_read_b128 v[68:71], v20
	ds_read_b128 v[72:75], v20 offset:1248
	ds_read_b128 v[76:79], v20 offset:2496
	;; [unrolled: 1-line block ×3, first 2 shown]
	v_lshlrev_b32_e32 v212, 1, v23
	v_lshlrev_b32_e32 v0, 1, v216
	v_and_or_b32 v0, 0x3fc, v0, v19
	s_waitcnt vmcnt(0) lgkmcnt(9)
	v_mul_f64 v[17:18], v[3:4], v[94:95]
	v_mul_f64 v[56:57], v[1:2], v[94:95]
	s_waitcnt lgkmcnt(8)
	v_mul_f64 v[58:59], v[7:8], v[94:95]
	v_mul_f64 v[60:61], v[5:6], v[94:95]
	s_waitcnt lgkmcnt(7)
	;; [unrolled: 3-line block ×5, first 2 shown]
	v_mul_f64 v[90:91], v[54:55], v[94:95]
	v_mul_f64 v[96:97], v[52:53], v[94:95]
	v_fma_f64 v[17:18], v[1:2], v[92:93], -v[17:18]
	v_fma_f64 v[56:57], v[3:4], v[92:93], v[56:57]
	v_fma_f64 v[58:59], v[5:6], v[92:93], -v[58:59]
	v_fma_f64 v[98:99], v[7:8], v[92:93], v[60:61]
	;; [unrolled: 2-line block ×6, first 2 shown]
	ds_read_b128 v[1:4], v20 offset:4992
	ds_read_b128 v[5:8], v20 offset:6240
	s_waitcnt lgkmcnt(0)
	s_barrier
	buffer_gl0_inv
	v_add_f64 v[60:61], v[68:69], -v[17:18]
	v_add_f64 v[62:63], v[70:71], -v[56:57]
	;; [unrolled: 1-line block ×8, first 2 shown]
	v_lshlrev_b32_e32 v9, 1, v22
	v_lshlrev_b32_e32 v10, 1, v219
	v_add_f64 v[96:97], v[1:2], -v[48:49]
	v_add_f64 v[98:99], v[3:4], -v[50:51]
	v_add_f64 v[100:101], v[5:6], -v[80:81]
	v_add_f64 v[102:103], v[7:8], -v[82:83]
	v_lshlrev_b32_e32 v11, 1, v220
	v_and_or_b32 v12, 0xfc, v45, v19
	v_and_or_b32 v13, 0x1fc, v212, v19
	;; [unrolled: 1-line block ×3, first 2 shown]
	v_lshl_add_u32 v38, v12, 4, v21
	v_lshl_add_u32 v37, v13, 4, v21
	v_fma_f64 v[48:49], v[68:69], 2.0, -v[60:61]
	v_fma_f64 v[50:51], v[70:71], 2.0, -v[62:63]
	;; [unrolled: 1-line block ×8, first 2 shown]
	v_lshl_add_u32 v75, v0, 4, v21
	v_lshl_add_u32 v74, v9, 4, v21
	v_fma_f64 v[88:89], v[1:2], 2.0, -v[96:97]
	v_fma_f64 v[90:91], v[3:4], 2.0, -v[98:99]
	;; [unrolled: 1-line block ×4, first 2 shown]
	v_and_or_b32 v1, 0x3fc, v10, v19
	v_and_or_b32 v2, 0x7fc, v11, v19
	v_lshl_add_u32 v73, v1, 4, v21
	v_lshl_add_u32 v72, v2, 4, v21
	ds_write_b128 v38, v[60:63] offset:32
	ds_write_b128 v38, v[48:51]
	ds_write_b128 v37, v[80:83]
	ds_write_b128 v37, v[56:59] offset:32
	ds_write_b128 v75, v[68:71]
	ds_write_b128 v75, v[64:67] offset:32
	;; [unrolled: 2-line block ×5, first 2 shown]
	s_waitcnt lgkmcnt(0)
	s_barrier
	buffer_gl0_inv
	s_and_saveexec_b32 s0, vcc_lo
	s_cbranch_execz .LBB0_3
; %bb.2:
	ds_read_b128 v[48:51], v20
	ds_read_b128 v[60:63], v20 offset:1152
	ds_read_b128 v[80:83], v20 offset:2304
	;; [unrolled: 1-line block ×12, first 2 shown]
.LBB0_3:
	s_or_b32 exec_lo, exec_lo, s0
	v_and_b32_e32 v27, 3, v255
	s_mov_b32 s0, 0x4267c47c
	s_mov_b32 s1, 0xbfddbe06
	;; [unrolled: 1-line block ×4, first 2 shown]
	v_mul_u32_u24_e32 v0, 12, v27
	s_mov_b32 s5, 0x3fec55a7
	s_mov_b32 s7, 0xbfea55e2
	;; [unrolled: 1-line block ×4, first 2 shown]
	v_lshlrev_b32_e32 v0, 4, v0
	s_mov_b32 s24, 0x66966769
	s_mov_b32 s25, 0xbfefc445
	;; [unrolled: 1-line block ×4, first 2 shown]
	s_clause 0xb
	global_load_dwordx4 v[33:36], v0, s[14:15] offset:32
	global_load_dwordx4 v[76:79], v0, s[14:15] offset:208
	;; [unrolled: 1-line block ×12, first 2 shown]
	s_mov_b32 s28, 0x2ef20147
	s_mov_b32 s29, 0xbfedeba7
	;; [unrolled: 1-line block ×12, first 2 shown]
	v_lshrrev_b32_e32 v28, 2, v255
	s_waitcnt vmcnt(0) lgkmcnt(0)
	s_barrier
	buffer_gl0_inv
	v_mul_f64 v[0:1], v[60:61], v[35:36]
	v_mul_f64 v[4:5], v[116:117], v[78:79]
	;; [unrolled: 1-line block ×11, first 2 shown]
	v_fma_f64 v[2:3], v[62:63], v[33:34], v[0:1]
	v_fma_f64 v[62:63], v[118:119], v[76:77], v[4:5]
	v_mul_f64 v[4:5], v[102:103], v[114:115]
	v_fma_f64 v[0:1], v[60:61], v[33:34], -v[6:7]
	v_fma_f64 v[60:61], v[116:117], v[76:77], -v[8:9]
	v_mul_f64 v[8:9], v[68:69], v[138:139]
	v_fma_f64 v[202:203], v[82:83], v[108:109], v[12:13]
	v_fma_f64 v[82:83], v[102:103], v[112:113], v[14:15]
	v_mul_f64 v[118:119], v[106:107], v[134:135]
	v_fma_f64 v[178:179], v[80:81], v[108:109], -v[10:11]
	v_mul_f64 v[10:11], v[96:97], v[146:147]
	v_mul_f64 v[12:13], v[66:67], v[158:159]
	;; [unrolled: 1-line block ×3, first 2 shown]
	v_fma_f64 v[168:169], v[56:57], v[128:129], -v[16:17]
	v_mul_f64 v[16:17], v[90:91], v[162:163]
	v_mul_f64 v[116:117], v[98:99], v[146:147]
	v_fma_f64 v[188:189], v[58:59], v[128:129], v[18:19]
	v_mul_f64 v[18:19], v[88:89], v[162:163]
	v_fma_f64 v[58:59], v[106:107], v[132:133], v[120:121]
	v_fma_f64 v[142:143], v[68:69], v[136:137], -v[122:123]
	v_mul_f64 v[102:103], v[84:85], v[182:183]
	v_add_f64 v[6:7], v[2:3], -v[62:63]
	v_fma_f64 v[80:81], v[100:101], v[112:113], -v[4:5]
	v_mul_f64 v[100:101], v[86:87], v[182:183]
	v_fma_f64 v[174:175], v[70:71], v[136:137], v[8:9]
	v_add_f64 v[8:9], v[0:1], v[60:61]
	v_add_f64 v[204:205], v[202:203], -v[82:83]
	v_fma_f64 v[56:57], v[104:105], v[132:133], -v[118:119]
	v_add_f64 v[192:193], v[202:203], v[82:83]
	v_fma_f64 v[70:71], v[98:99], v[144:145], v[10:11]
	v_mul_f64 v[10:11], v[54:55], v[31:32]
	v_fma_f64 v[104:105], v[64:65], v[156:157], -v[12:13]
	v_fma_f64 v[148:149], v[66:67], v[156:157], v[14:15]
	v_mul_f64 v[14:15], v[52:53], v[31:32]
	v_fma_f64 v[64:65], v[88:89], v[160:161], -v[16:17]
	v_add_f64 v[12:13], v[0:1], -v[60:61]
	v_fma_f64 v[68:69], v[96:97], v[144:145], -v[116:117]
	v_fma_f64 v[66:67], v[90:91], v[160:161], v[18:19]
	v_add_f64 v[200:201], v[188:189], -v[58:59]
	v_add_f64 v[196:197], v[188:189], v[58:59]
	v_fma_f64 v[118:119], v[86:87], v[180:181], v[102:103]
	v_mul_f64 v[4:5], v[6:7], s[0:1]
	v_add_f64 v[124:125], v[178:179], v[80:81]
	v_add_f64 v[208:209], v[178:179], -v[80:81]
	v_fma_f64 v[90:91], v[84:85], v[180:181], -v[100:101]
	v_mul_f64 v[126:127], v[204:205], s[6:7]
	v_add_f64 v[150:151], v[168:169], v[56:57]
	v_add_f64 v[210:211], v[168:169], -v[56:57]
	v_add_f64 v[172:173], v[174:175], -v[70:71]
	v_fma_f64 v[96:97], v[52:53], v[29:30], -v[10:11]
	v_add_f64 v[190:191], v[174:175], v[70:71]
	v_fma_f64 v[140:141], v[54:55], v[29:30], v[14:15]
	v_add_f64 v[14:15], v[2:3], v[62:63]
	v_mul_f64 v[10:11], v[12:13], s[0:1]
	v_add_f64 v[170:171], v[142:143], v[68:69]
	v_add_f64 v[206:207], v[142:143], -v[68:69]
	v_mul_f64 v[152:153], v[200:201], s[24:25]
	v_add_f64 v[102:103], v[148:149], -v[66:67]
	v_add_f64 v[84:85], v[104:105], v[64:65]
	v_add_f64 v[122:123], v[104:105], -v[64:65]
	v_fma_f64 v[16:17], v[8:9], s[4:5], v[4:5]
	v_add_f64 v[176:177], v[148:149], v[66:67]
	v_mul_f64 v[194:195], v[208:209], s[6:7]
	v_fma_f64 v[18:19], v[124:125], s[16:17], v[126:127]
	v_mul_f64 v[198:199], v[210:211], s[24:25]
	v_mul_f64 v[116:117], v[172:173], s[28:29]
	v_add_f64 v[100:101], v[118:119], -v[140:141]
	v_add_f64 v[120:121], v[118:119], v[140:141]
	v_mul_f64 v[154:155], v[206:207], s[28:29]
	v_mul_f64 v[184:185], v[102:103], s[26:27]
	;; [unrolled: 1-line block ×3, first 2 shown]
	v_add_f64 v[16:17], v[48:49], v[16:17]
	v_fma_f64 v[52:53], v[192:193], s[16:17], -v[194:195]
	v_mul_f64 v[25:26], v[100:101], s[42:43]
	v_add_f64 v[16:17], v[18:19], v[16:17]
	v_fma_f64 v[18:19], v[14:15], s[4:5], -v[10:11]
	v_add_f64 v[18:19], v[50:51], v[18:19]
	v_add_f64 v[18:19], v[52:53], v[18:19]
	v_fma_f64 v[52:53], v[150:151], s[18:19], v[152:153]
	v_add_f64 v[16:17], v[52:53], v[16:17]
	v_fma_f64 v[52:53], v[196:197], s[18:19], -v[198:199]
	v_add_f64 v[18:19], v[52:53], v[18:19]
	v_fma_f64 v[52:53], v[170:171], s[22:23], v[116:117]
	v_add_f64 v[16:17], v[52:53], v[16:17]
	v_fma_f64 v[52:53], v[190:191], s[22:23], -v[154:155]
	;; [unrolled: 4-line block ×3, first 2 shown]
	v_add_f64 v[18:19], v[52:53], v[18:19]
	v_add_f64 v[52:53], v[90:91], v[96:97]
	v_fma_f64 v[54:55], v[52:53], s[34:35], v[25:26]
	v_add_f64 v[164:165], v[54:55], v[16:17]
	v_add_f64 v[54:55], v[90:91], -v[96:97]
	v_mul_f64 v[46:47], v[54:55], s[42:43]
	v_fma_f64 v[16:17], v[120:121], s[34:35], -v[46:47]
	v_add_f64 v[166:167], v[16:17], v[18:19]
	s_and_saveexec_b32 s33, vcc_lo
	s_cbranch_execz .LBB0_5
; %bb.4:
	v_mul_f64 v[18:19], v[14:15], s[34:35]
	v_mul_f64 v[214:215], v[14:15], s[20:21]
	;; [unrolled: 1-line block ×6, first 2 shown]
	s_mov_b32 s37, 0x3fedeba7
	s_mov_b32 s36, s28
	;; [unrolled: 1-line block ×10, first 2 shown]
	v_mov_b32_e32 v24, v212
	v_mul_f64 v[247:248], v[6:7], s[28:29]
	v_mul_f64 v[249:250], v[6:7], s[24:25]
	s_mov_b32 s47, 0x3fddbe06
	s_mov_b32 s46, s0
	v_add_f64 v[2:3], v[50:51], v[2:3]
	v_fma_f64 v[16:17], v[12:13], s[44:45], v[18:19]
	v_fma_f64 v[18:19], v[12:13], s[42:43], v[18:19]
	;; [unrolled: 1-line block ×10, first 2 shown]
	v_add_f64 v[10:11], v[10:11], v[14:15]
	v_mul_f64 v[14:15], v[6:7], s[42:43]
	v_mul_f64 v[230:231], v[6:7], s[26:27]
	;; [unrolled: 1-line block ×6, first 2 shown]
	v_fma_f64 v[237:238], v[8:9], s[22:23], v[247:248]
	v_fma_f64 v[247:248], v[8:9], s[22:23], -v[247:248]
	v_fma_f64 v[239:240], v[8:9], s[18:19], v[249:250]
	v_fma_f64 v[249:250], v[8:9], s[18:19], -v[249:250]
	v_mul_f64 v[86:87], v[176:177], s[22:23]
	v_add_f64 v[16:17], v[50:51], v[16:17]
	v_add_f64 v[18:19], v[50:51], v[18:19]
	;; [unrolled: 1-line block ×10, first 2 shown]
	v_mul_f64 v[88:89], v[102:103], s[28:29]
	v_fma_f64 v[251:252], v[8:9], s[34:35], v[14:15]
	v_fma_f64 v[14:15], v[8:9], s[34:35], -v[14:15]
	v_fma_f64 v[253:254], v[8:9], s[20:21], v[230:231]
	v_fma_f64 v[230:231], v[8:9], s[20:21], -v[230:231]
	;; [unrolled: 2-line block ×3, first 2 shown]
	v_mul_f64 v[8:9], v[8:9], s[4:5]
	v_add_f64 v[237:238], v[48:49], v[237:238]
	v_add_f64 v[247:248], v[48:49], v[247:248]
	;; [unrolled: 1-line block ×4, first 2 shown]
	v_mul_f64 v[98:99], v[120:121], s[18:19]
	v_add_f64 v[2:3], v[2:3], v[202:203]
	v_add_f64 v[251:252], v[48:49], v[251:252]
	;; [unrolled: 1-line block ×6, first 2 shown]
	v_add_f64 v[232:233], v[8:9], -v[4:5]
	v_add_f64 v[8:9], v[50:51], v[10:11]
	v_add_f64 v[10:11], v[48:49], v[0:1]
	v_mul_f64 v[0:1], v[192:193], s[4:5]
	v_add_f64 v[4:5], v[48:49], v[6:7]
	v_add_f64 v[2:3], v[2:3], v[188:189]
	;; [unrolled: 1-line block ×3, first 2 shown]
	v_mul_f64 v[232:233], v[204:205], s[46:47]
	v_add_f64 v[10:11], v[10:11], v[178:179]
	v_fma_f64 v[48:49], v[208:209], s[0:1], v[0:1]
	v_fma_f64 v[0:1], v[208:209], s[46:47], v[0:1]
	v_mul_f64 v[178:179], v[200:201], s[42:43]
	v_add_f64 v[2:3], v[2:3], v[174:175]
	v_add_f64 v[10:11], v[10:11], v[168:169]
	;; [unrolled: 1-line block ×3, first 2 shown]
	v_fma_f64 v[48:49], v[124:125], s[4:5], v[232:233]
	v_add_f64 v[0:1], v[0:1], v[18:19]
	v_fma_f64 v[18:19], v[124:125], s[4:5], -v[232:233]
	v_add_f64 v[2:3], v[2:3], v[148:149]
	v_mul_f64 v[168:169], v[192:193], s[16:17]
	v_mul_f64 v[148:149], v[84:85], s[20:21]
	v_add_f64 v[10:11], v[10:11], v[142:143]
	v_mul_f64 v[142:143], v[196:197], s[18:19]
	v_add_f64 v[48:49], v[48:49], v[251:252]
	;; [unrolled: 2-line block ×4, first 2 shown]
	v_add_f64 v[168:169], v[194:195], v[168:169]
	v_mul_f64 v[118:119], v[150:151], s[18:19]
	v_add_f64 v[148:149], v[148:149], -v[184:185]
	v_add_f64 v[10:11], v[10:11], v[104:105]
	v_add_f64 v[142:143], v[198:199], v[142:143]
	v_fma_f64 v[50:51], v[210:211], s[30:31], v[251:252]
	v_add_f64 v[2:3], v[2:3], v[140:141]
	v_add_f64 v[8:9], v[168:169], v[8:9]
	v_add_f64 v[118:119], v[118:119], -v[152:153]
	v_mul_f64 v[140:141], v[176:177], s[20:21]
	v_mul_f64 v[152:153], v[100:101], s[26:27]
	v_add_f64 v[10:11], v[10:11], v[90:91]
	v_fma_f64 v[90:91], v[150:151], s[34:35], -v[178:179]
	v_add_f64 v[16:17], v[50:51], v[16:17]
	v_fma_f64 v[50:51], v[150:151], s[20:21], v[234:235]
	v_add_f64 v[2:3], v[2:3], v[66:67]
	v_add_f64 v[8:9], v[142:143], v[8:9]
	v_mul_f64 v[142:143], v[52:53], s[34:35]
	v_add_f64 v[10:11], v[10:11], v[96:97]
	v_mul_f64 v[96:97], v[172:173], s[30:31]
	v_add_f64 v[48:49], v[50:51], v[48:49]
	v_fma_f64 v[50:51], v[206:207], s[6:7], v[243:244]
	v_add_f64 v[2:3], v[2:3], v[70:71]
	v_add_f64 v[142:143], v[142:143], -v[25:26]
	v_add_f64 v[10:11], v[10:11], v[64:65]
	v_mul_f64 v[64:65], v[176:177], s[16:17]
	v_fma_f64 v[66:67], v[170:171], s[20:21], v[96:97]
	v_fma_f64 v[96:97], v[170:171], s[20:21], -v[96:97]
	v_add_f64 v[16:17], v[50:51], v[16:17]
	v_fma_f64 v[50:51], v[170:171], s[16:17], v[217:218]
	v_add_f64 v[2:3], v[2:3], v[58:59]
	v_add_f64 v[10:11], v[10:11], v[68:69]
	v_mul_f64 v[68:69], v[102:103], s[6:7]
	v_fma_f64 v[70:71], v[122:123], s[38:39], v[64:65]
	v_fma_f64 v[64:65], v[122:123], s[6:7], v[64:65]
	v_add_f64 v[48:49], v[50:51], v[48:49]
	v_fma_f64 v[50:51], v[122:123], s[36:37], v[86:87]
	v_fma_f64 v[86:87], v[122:123], s[28:29], v[86:87]
	v_add_f64 v[82:83], v[2:3], v[82:83]
	v_add_f64 v[10:11], v[10:11], v[56:57]
	;; [unrolled: 1-line block ×3, first 2 shown]
	v_fma_f64 v[50:51], v[84:85], s[22:23], v[88:89]
	v_add_f64 v[80:81], v[10:11], v[80:81]
	v_add_f64 v[48:49], v[50:51], v[48:49]
	v_fma_f64 v[50:51], v[54:55], s[24:25], v[98:99]
	v_fma_f64 v[98:99], v[54:55], s[40:41], v[98:99]
	v_add_f64 v[50:51], v[50:51], v[16:17]
	v_mul_f64 v[16:17], v[100:101], s[40:41]
	v_fma_f64 v[106:107], v[52:53], s[18:19], v[16:17]
	v_fma_f64 v[16:17], v[52:53], s[18:19], -v[16:17]
	v_add_f64 v[48:49], v[106:107], v[48:49]
	v_fma_f64 v[106:107], v[208:209], s[24:25], v[18:19]
	v_fma_f64 v[18:19], v[208:209], s[40:41], v[18:19]
	v_add_f64 v[106:107], v[106:107], v[212:213]
	v_add_f64 v[18:19], v[18:19], v[214:215]
	v_fma_f64 v[214:215], v[210:211], s[26:27], v[251:252]
	v_mul_f64 v[212:213], v[204:205], s[40:41]
	v_add_f64 v[0:1], v[214:215], v[0:1]
	v_fma_f64 v[214:215], v[150:151], s[20:21], -v[234:235]
	v_fma_f64 v[232:233], v[124:125], s[18:19], v[212:213]
	v_fma_f64 v[212:213], v[124:125], s[18:19], -v[212:213]
	v_add_f64 v[14:15], v[214:215], v[14:15]
	v_mul_f64 v[214:215], v[196:197], s[16:17]
	v_add_f64 v[212:213], v[212:213], v[230:231]
	v_add_f64 v[232:233], v[232:233], v[253:254]
	v_fma_f64 v[230:231], v[210:211], s[38:39], v[214:215]
	v_fma_f64 v[214:215], v[210:211], s[6:7], v[214:215]
	v_add_f64 v[106:107], v[230:231], v[106:107]
	v_mul_f64 v[230:231], v[200:201], s[6:7]
	v_add_f64 v[18:19], v[214:215], v[18:19]
	v_fma_f64 v[214:215], v[150:151], s[16:17], -v[230:231]
	v_fma_f64 v[234:235], v[150:151], s[16:17], v[230:231]
	v_add_f64 v[212:213], v[214:215], v[212:213]
	v_fma_f64 v[214:215], v[206:207], s[38:39], v[243:244]
	v_add_f64 v[232:233], v[234:235], v[232:233]
	v_add_f64 v[0:1], v[214:215], v[0:1]
	v_fma_f64 v[214:215], v[170:171], s[16:17], -v[217:218]
	v_add_f64 v[86:87], v[86:87], v[0:1]
	v_add_f64 v[14:15], v[214:215], v[14:15]
	v_mul_f64 v[214:215], v[190:191], s[34:35]
	v_fma_f64 v[0:1], v[84:85], s[22:23], -v[88:89]
	v_fma_f64 v[217:218], v[206:207], s[42:43], v[214:215]
	v_add_f64 v[14:15], v[0:1], v[14:15]
	v_mul_f64 v[0:1], v[176:177], s[4:5]
	v_fma_f64 v[214:215], v[206:207], s[44:45], v[214:215]
	v_add_f64 v[106:107], v[217:218], v[106:107]
	v_mul_f64 v[217:218], v[172:173], s[44:45]
	v_fma_f64 v[88:89], v[122:123], s[0:1], v[0:1]
	v_add_f64 v[18:19], v[214:215], v[18:19]
	v_fma_f64 v[0:1], v[122:123], s[46:47], v[0:1]
	v_add_f64 v[2:3], v[16:17], v[14:15]
	v_fma_f64 v[214:215], v[170:171], s[34:35], -v[217:218]
	v_add_f64 v[88:89], v[88:89], v[106:107]
	v_mul_f64 v[106:107], v[102:103], s[46:47]
	v_add_f64 v[18:19], v[0:1], v[18:19]
	v_fma_f64 v[230:231], v[170:171], s[34:35], v[217:218]
	v_mul_f64 v[217:218], v[196:197], s[4:5]
	v_add_f64 v[212:213], v[214:215], v[212:213]
	v_fma_f64 v[0:1], v[84:85], s[4:5], -v[106:107]
	v_fma_f64 v[214:215], v[84:85], s[4:5], v[106:107]
	v_add_f64 v[230:231], v[230:231], v[232:233]
	v_add_f64 v[106:107], v[0:1], v[212:213]
	v_mul_f64 v[212:213], v[192:193], s[20:21]
	v_add_f64 v[214:215], v[214:215], v[230:231]
	v_fma_f64 v[0:1], v[208:209], s[26:27], v[212:213]
	v_fma_f64 v[212:213], v[208:209], s[30:31], v[212:213]
	v_add_f64 v[0:1], v[0:1], v[224:225]
	v_fma_f64 v[224:225], v[210:211], s[0:1], v[217:218]
	v_add_f64 v[212:213], v[212:213], v[222:223]
	;; [unrolled: 2-line block ×3, first 2 shown]
	v_mul_f64 v[224:225], v[190:191], s[18:19]
	v_add_f64 v[212:213], v[217:218], v[212:213]
	v_fma_f64 v[230:231], v[206:207], s[40:41], v[224:225]
	v_fma_f64 v[217:218], v[206:207], s[24:25], v[224:225]
	v_add_f64 v[0:1], v[230:231], v[0:1]
	v_mul_f64 v[230:231], v[176:177], s[34:35]
	v_add_f64 v[212:213], v[217:218], v[212:213]
	v_fma_f64 v[232:233], v[122:123], s[42:43], v[230:231]
	v_fma_f64 v[217:218], v[122:123], s[44:45], v[230:231]
	v_add_f64 v[0:1], v[232:233], v[0:1]
	v_mul_f64 v[232:233], v[204:205], s[30:31]
	v_add_f64 v[212:213], v[217:218], v[212:213]
	v_fma_f64 v[234:235], v[124:125], s[20:21], v[232:233]
	v_fma_f64 v[217:218], v[124:125], s[20:21], -v[232:233]
	v_add_f64 v[234:235], v[234:235], v[237:238]
	v_mul_f64 v[237:238], v[200:201], s[46:47]
	v_add_f64 v[217:218], v[217:218], v[247:248]
	v_fma_f64 v[243:244], v[150:151], s[4:5], v[237:238]
	v_fma_f64 v[222:223], v[150:151], s[4:5], -v[237:238]
	;; [unrolled: 5-line block ×3, first 2 shown]
	v_add_f64 v[234:235], v[251:252], v[234:235]
	v_mul_f64 v[251:252], v[102:103], s[44:45]
	v_add_f64 v[217:218], v[222:223], v[217:218]
	v_mul_f64 v[102:103], v[102:103], s[40:41]
	v_fma_f64 v[222:223], v[84:85], s[34:35], -v[251:252]
	v_fma_f64 v[253:254], v[84:85], s[34:35], v[251:252]
	v_fma_f64 v[56:57], v[84:85], s[18:19], -v[102:103]
	v_add_f64 v[217:218], v[222:223], v[217:218]
	v_mul_f64 v[222:223], v[192:193], s[34:35]
	v_add_f64 v[234:235], v[253:254], v[234:235]
	v_fma_f64 v[224:225], v[208:209], s[44:45], v[222:223]
	v_fma_f64 v[222:223], v[208:209], s[42:43], v[222:223]
	v_add_f64 v[224:225], v[224:225], v[228:229]
	v_mul_f64 v[228:229], v[196:197], s[22:23]
	v_add_f64 v[222:223], v[222:223], v[226:227]
	v_fma_f64 v[230:231], v[210:211], s[28:29], v[228:229]
	v_fma_f64 v[226:227], v[210:211], s[36:37], v[228:229]
	;; [unrolled: 5-line block ×3, first 2 shown]
	v_add_f64 v[224:225], v[232:233], v[224:225]
	v_mul_f64 v[232:233], v[204:205], s[42:43]
	v_add_f64 v[222:223], v[226:227], v[222:223]
	v_mul_f64 v[204:205], v[204:205], s[28:29]
	v_add_f64 v[70:71], v[70:71], v[224:225]
	v_fma_f64 v[237:238], v[124:125], s[34:35], v[232:233]
	v_fma_f64 v[226:227], v[124:125], s[34:35], -v[232:233]
	v_fma_f64 v[104:105], v[124:125], s[22:23], -v[204:205]
	v_mul_f64 v[232:233], v[196:197], s[34:35]
	v_add_f64 v[64:65], v[64:65], v[222:223]
	v_add_f64 v[237:238], v[237:238], v[239:240]
	v_mul_f64 v[239:240], v[200:201], s[36:37]
	v_add_f64 v[226:227], v[226:227], v[249:250]
	v_add_f64 v[4:5], v[104:105], v[4:5]
	v_fma_f64 v[200:201], v[150:151], s[34:35], v[178:179]
	v_mul_f64 v[104:105], v[176:177], s[18:19]
	v_fma_f64 v[243:244], v[150:151], s[22:23], v[239:240]
	v_fma_f64 v[228:229], v[150:151], s[22:23], -v[239:240]
	v_fma_f64 v[239:240], v[210:211], s[44:45], v[232:233]
	v_fma_f64 v[210:211], v[210:211], s[42:43], v[232:233]
	v_add_f64 v[90:91], v[90:91], v[4:5]
	v_fma_f64 v[150:151], v[122:123], s[24:25], v[104:105]
	v_fma_f64 v[104:105], v[122:123], s[40:41], v[104:105]
	v_mul_f64 v[122:123], v[120:121], s[34:35]
	v_add_f64 v[4:5], v[98:99], v[86:87]
	v_add_f64 v[98:99], v[186:187], v[140:141]
	v_mul_f64 v[86:87], v[120:121], s[16:17]
	v_mul_f64 v[140:141], v[100:101], s[38:39]
	v_add_f64 v[237:238], v[243:244], v[237:238]
	v_mul_f64 v[243:244], v[172:173], s[46:47]
	v_add_f64 v[226:227], v[228:229], v[226:227]
	v_add_f64 v[90:91], v[96:97], v[90:91]
	v_fma_f64 v[96:97], v[84:85], s[16:17], -v[68:69]
	v_fma_f64 v[68:69], v[84:85], s[16:17], v[68:69]
	v_fma_f64 v[84:85], v[84:85], s[18:19], v[102:103]
	v_add_f64 v[122:123], v[46:47], v[122:123]
	v_fma_f64 v[102:103], v[54:55], s[6:7], v[86:87]
	v_fma_f64 v[86:87], v[54:55], s[38:39], v[86:87]
	v_fma_f64 v[228:229], v[170:171], s[4:5], -v[243:244]
	v_fma_f64 v[247:248], v[170:171], s[4:5], v[243:244]
	v_add_f64 v[56:57], v[56:57], v[90:91]
	v_add_f64 v[16:17], v[86:87], v[212:213]
	v_mov_b32_e32 v212, v24
	v_add_f64 v[226:227], v[228:229], v[226:227]
	v_mul_f64 v[228:229], v[192:193], s[22:23]
	v_add_f64 v[237:238], v[247:248], v[237:238]
	v_add_f64 v[90:91], v[96:97], v[226:227]
	v_fma_f64 v[230:231], v[208:209], s[36:37], v[228:229]
	v_fma_f64 v[208:209], v[208:209], s[28:29], v[228:229]
	;; [unrolled: 1-line block ×3, first 2 shown]
	v_mul_f64 v[124:125], v[124:125], s[16:17]
	v_add_f64 v[230:231], v[230:231], v[245:246]
	v_add_f64 v[12:13], v[208:209], v[12:13]
	;; [unrolled: 1-line block ×3, first 2 shown]
	v_add_f64 v[124:125], v[124:125], -v[126:127]
	v_mul_f64 v[126:127], v[170:171], s[22:23]
	v_fma_f64 v[170:171], v[52:53], s[20:21], -v[152:153]
	v_add_f64 v[230:231], v[239:240], v[230:231]
	v_mul_f64 v[239:240], v[190:191], s[20:21]
	v_add_f64 v[12:13], v[210:211], v[12:13]
	v_add_f64 v[6:7], v[124:125], v[6:7]
	v_mul_f64 v[124:125], v[190:191], s[22:23]
	v_add_f64 v[116:117], v[126:127], -v[116:117]
	v_add_f64 v[200:201], v[200:201], v[228:229]
	v_mul_f64 v[126:127], v[120:121], s[22:23]
	v_fma_f64 v[202:203], v[206:207], s[30:31], v[239:240]
	v_fma_f64 v[243:244], v[206:207], s[26:27], v[239:240]
	v_add_f64 v[6:7], v[118:119], v[6:7]
	v_add_f64 v[124:125], v[154:155], v[124:125]
	v_mul_f64 v[118:119], v[100:101], s[28:29]
	v_mul_f64 v[100:101], v[100:101], s[46:47]
	v_add_f64 v[66:67], v[66:67], v[200:201]
	v_fma_f64 v[154:155], v[52:53], s[16:17], v[140:141]
	v_fma_f64 v[140:141], v[52:53], s[16:17], -v[140:141]
	v_add_f64 v[12:13], v[202:203], v[12:13]
	v_add_f64 v[230:231], v[243:244], v[230:231]
	;; [unrolled: 1-line block ×4, first 2 shown]
	v_mul_f64 v[124:125], v[120:121], s[20:21]
	v_mul_f64 v[120:121], v[120:121], s[4:5]
	v_fma_f64 v[58:59], v[52:53], s[22:23], v[118:119]
	v_fma_f64 v[174:175], v[52:53], s[4:5], -v[100:101]
	v_fma_f64 v[116:117], v[54:55], s[36:37], v[126:127]
	v_fma_f64 v[126:127], v[54:55], s[28:29], v[126:127]
	v_fma_f64 v[118:119], v[52:53], s[22:23], -v[118:119]
	v_fma_f64 v[100:101], v[52:53], s[4:5], v[100:101]
	v_add_f64 v[176:177], v[84:85], v[66:67]
	v_add_f64 v[66:67], v[80:81], v[60:61]
	v_add_f64 v[14:15], v[140:141], v[217:218]
	v_add_f64 v[80:81], v[154:155], v[234:235]
	v_add_f64 v[104:105], v[104:105], v[12:13]
	v_add_f64 v[150:151], v[150:151], v[230:231]
	v_add_f64 v[148:149], v[148:149], v[6:7]
	v_add_f64 v[98:99], v[98:99], v[8:9]
	v_fma_f64 v[168:169], v[54:55], s[26:27], v[124:125]
	v_fma_f64 v[172:173], v[54:55], s[46:47], v[120:121]
	;; [unrolled: 1-line block ×4, first 2 shown]
	v_add_f64 v[152:153], v[68:69], v[237:238]
	v_fma_f64 v[120:121], v[54:55], s[0:1], v[120:121]
	v_add_f64 v[68:69], v[82:83], v[62:63]
	v_add_f64 v[6:7], v[58:59], v[214:215]
	;; [unrolled: 1-line block ×7, first 2 shown]
	v_mul_u32_u24_e32 v0, 52, v28
	v_add_f64 v[8:9], v[116:117], v[88:89]
	v_add_f64 v[88:89], v[100:101], v[176:177]
	v_or_b32_e32 v0, v0, v27
	v_add_f64 v[62:63], v[142:143], v[148:149]
	v_add_f64 v[54:55], v[168:169], v[64:65]
	;; [unrolled: 1-line block ×7, first 2 shown]
	v_lshl_add_u32 v0, v0, 4, v21
	ds_write_b128 v0, v[66:69]
	ds_write_b128 v0, v[62:65] offset:64
	ds_write_b128 v0, v[56:59] offset:128
	;; [unrolled: 1-line block ×12, first 2 shown]
.LBB0_5:
	s_or_b32 exec_lo, exec_lo, s33
	v_add_co_u32 v0, s1, 0xffffffcc, v255
	v_cmp_gt_u16_e64 s0, 52, v255
	v_and_b32_e32 v1, 0xff, v23
	v_add_co_ci_u32_e64 v2, null, 0, -1, s1
	v_mov_b32_e32 v7, 0x4ec5
	v_cndmask_b32_e64 v104, v0, v255, s0
	v_mul_lo_u16 v0, 0x4f, v1
	v_cndmask_b32_e64 v105, v2, 0, s0
	v_and_b32_e32 v2, 0xff, v216
	v_mul_u32_u24_sdwa v3, v22, v7 dst_sel:DWORD dst_unused:UNUSED_PAD src0_sel:WORD_0 src1_sel:DWORD
	s_waitcnt lgkmcnt(0)
	v_lshrrev_b16 v19, 12, v0
	v_lshlrev_b64 v[0:1], 4, v[104:105]
	v_mul_lo_u16 v4, 0x4f, v2
	s_barrier
	buffer_gl0_inv
	v_mul_lo_u16 v2, v19, 52
	v_mov_b32_e32 v11, 4
	v_add_co_u32 v5, s0, s14, v0
	v_add_co_ci_u32_e64 v6, s0, s15, v1, s0
	v_lshrrev_b16 v24, 12, v4
	v_sub_nc_u16 v0, v23, v2
	v_mul_u32_u24_sdwa v2, v219, v7 dst_sel:DWORD dst_unused:UNUSED_PAD src0_sel:WORD_0 src1_sel:DWORD
	global_load_dwordx4 v[245:248], v[5:6], off offset:800
	v_mul_u32_u24_sdwa v6, v220, v7 dst_sel:DWORD dst_unused:UNUSED_PAD src0_sel:WORD_0 src1_sel:DWORD
	v_mul_lo_u16 v7, v24, 52
	v_lshrrev_b32_e32 v1, 20, v3
	v_lshrrev_b32_e32 v5, 20, v2
	v_lshlrev_b32_sdwa v9, v11, v0 dst_sel:DWORD dst_unused:UNUSED_PAD src0_sel:DWORD src1_sel:BYTE_0
	v_lshrrev_b32_e32 v6, 20, v6
	v_sub_nc_u16 v7, v216, v7
	v_mul_lo_u16 v2, v1, 52
	v_mul_lo_u16 v10, v5, 52
	global_load_dwordx4 v[52:55], v9, s[14:15] offset:800
	v_cmp_lt_u16_e64 s0, 51, v255
	v_lshlrev_b32_sdwa v12, v11, v7 dst_sel:DWORD dst_unused:UNUSED_PAD src0_sel:DWORD src1_sel:BYTE_0
	v_sub_nc_u16 v8, v22, v2
	v_mul_lo_u16 v2, v6, 52
	v_mov_b32_e32 v26, 0x68
	v_cndmask_b32_e64 v25, 0, 0x68, s0
	global_load_dwordx4 v[56:59], v12, s[14:15] offset:800
	v_sub_nc_u16 v9, v219, v10
	v_sub_nc_u16 v10, v220, v2
	v_lshlrev_b32_sdwa v13, v11, v8 dst_sel:DWORD dst_unused:UNUSED_PAD src0_sel:DWORD src1_sel:WORD_0
	v_add_nc_u32_e32 v25, v104, v25
	v_mul_u32_u24_sdwa v19, v19, v26 dst_sel:DWORD dst_unused:UNUSED_PAD src0_sel:WORD_0 src1_sel:DWORD
	v_lshlrev_b32_sdwa v2, v11, v9 dst_sel:DWORD dst_unused:UNUSED_PAD src0_sel:DWORD src1_sel:WORD_0
	v_lshlrev_b32_sdwa v11, v11, v10 dst_sel:DWORD dst_unused:UNUSED_PAD src0_sel:DWORD src1_sel:WORD_0
	s_clause 0x2
	global_load_dwordx4 v[60:63], v13, s[14:15] offset:800
	global_load_dwordx4 v[64:67], v2, s[14:15] offset:800
	;; [unrolled: 1-line block ×3, first 2 shown]
	ds_read_b128 v[11:14], v20 offset:7488
	ds_read_b128 v[15:18], v20 offset:8736
	;; [unrolled: 1-line block ×6, first 2 shown]
	ds_read_b128 v[100:103], v20
	v_mul_u32_u24_sdwa v24, v24, v26 dst_sel:DWORD dst_unused:UNUSED_PAD src0_sel:WORD_0 src1_sel:DWORD
	v_lshl_add_u32 v186, v25, 4, v21
	v_add_nc_u32_sdwa v0, v19, v0 dst_sel:DWORD dst_unused:UNUSED_PAD src0_sel:DWORD src1_sel:BYTE_0
	v_mad_u16 v1, 0x68, v1, v8
	v_mad_u16 v25, 0x68, v6, v10
	v_add_nc_u32_sdwa v19, v24, v7 dst_sel:DWORD dst_unused:UNUSED_PAD src0_sel:DWORD src1_sel:BYTE_0
	v_mad_u16 v24, 0x68, v5, v9
	v_lshlrev_b32_e32 v2, 4, v45
	v_and_b32_e32 v1, 0xffff, v1
	v_add_co_u32 v26, s1, 0xffffffe6, v255
	v_lshl_add_u32 v185, v0, 4, v21
	v_cmp_gt_u16_e64 s0, 26, v255
	v_lshl_add_u32 v184, v19, 4, v21
	v_lshl_add_u32 v46, v1, 4, v21
	v_add_co_ci_u32_e64 v1, null, 0, -1, s1
	v_cndmask_b32_e64 v0, v26, v23, s0
	v_lshrrev_b32_e32 v3, 21, v3
	s_mov_b32 s4, 0xe8584caa
	v_cndmask_b32_e64 v1, v1, v221, s0
	s_mov_b32 s5, 0x3febb67a
	s_mov_b32 s7, 0xbfebb67a
	v_mul_lo_u16 v3, 0x68, v3
	s_mov_b32 s6, s4
	v_lshl_add_u32 v238, v255, 4, v21
	v_sub_nc_u16 v3, v22, v3
	s_waitcnt vmcnt(5) lgkmcnt(6)
	v_mul_f64 v[105:106], v[13:14], v[247:248]
	v_mul_f64 v[116:117], v[11:12], v[247:248]
	s_waitcnt vmcnt(4) lgkmcnt(5)
	v_mul_f64 v[118:119], v[17:18], v[54:55]
	v_mul_f64 v[120:121], v[15:16], v[54:55]
	;; [unrolled: 3-line block ×3, first 2 shown]
	v_fma_f64 v[105:106], v[11:12], v[245:246], -v[105:106]
	v_fma_f64 v[116:117], v[13:14], v[245:246], v[116:117]
	ds_read_b128 v[11:14], v20 offset:1248
	s_waitcnt vmcnt(2) lgkmcnt(4)
	v_mul_f64 v[126:127], v[86:87], v[62:63]
	v_mul_f64 v[140:141], v[84:85], v[62:63]
	s_waitcnt vmcnt(1) lgkmcnt(3)
	v_mul_f64 v[142:143], v[90:91], v[66:67]
	v_mul_f64 v[148:149], v[88:89], v[66:67]
	;; [unrolled: 3-line block ×3, first 2 shown]
	v_fma_f64 v[118:119], v[15:16], v[52:53], -v[118:119]
	v_fma_f64 v[120:121], v[17:18], v[52:53], v[120:121]
	ds_read_b128 v[15:18], v20 offset:2496
	v_fma_f64 v[122:123], v[80:81], v[56:57], -v[122:123]
	v_fma_f64 v[124:125], v[82:83], v[56:57], v[124:125]
	ds_read_b128 v[80:83], v20 offset:3744
	v_fma_f64 v[126:127], v[84:85], v[60:61], -v[126:127]
	v_fma_f64 v[140:141], v[86:87], v[60:61], v[140:141]
	v_fma_f64 v[142:143], v[88:89], v[64:65], -v[142:143]
	v_fma_f64 v[148:149], v[90:91], v[64:65], v[148:149]
	ds_read_b128 v[84:87], v20 offset:4992
	ds_read_b128 v[88:91], v20 offset:6240
	v_fma_f64 v[150:151], v[96:97], v[68:69], -v[150:151]
	v_fma_f64 v[152:153], v[98:99], v[68:69], v[152:153]
	s_waitcnt lgkmcnt(5)
	v_add_f64 v[96:97], v[100:101], -v[105:106]
	v_add_f64 v[98:99], v[102:103], -v[116:117]
	s_waitcnt lgkmcnt(4)
	v_add_f64 v[104:105], v[11:12], -v[118:119]
	v_add_f64 v[106:107], v[13:14], -v[120:121]
	s_waitcnt lgkmcnt(0)
	s_barrier
	v_add_f64 v[116:117], v[15:16], -v[122:123]
	v_add_f64 v[118:119], v[17:18], -v[124:125]
	buffer_gl0_inv
	v_add_f64 v[120:121], v[80:81], -v[126:127]
	v_add_f64 v[122:123], v[82:83], -v[140:141]
	;; [unrolled: 1-line block ×6, first 2 shown]
	v_fma_f64 v[5:6], v[100:101], 2.0, -v[96:97]
	v_fma_f64 v[7:8], v[102:103], 2.0, -v[98:99]
	;; [unrolled: 1-line block ×6, first 2 shown]
	v_and_b32_e32 v17, 0xffff, v24
	v_and_b32_e32 v18, 0xffff, v25
	v_lshl_add_u32 v47, v17, 4, v21
	v_fma_f64 v[80:81], v[80:81], 2.0, -v[120:121]
	v_fma_f64 v[82:83], v[82:83], 2.0, -v[122:123]
	;; [unrolled: 1-line block ×4, first 2 shown]
	v_lshl_add_u32 v45, v18, 4, v21
	v_fma_f64 v[88:89], v[88:89], 2.0, -v[140:141]
	v_fma_f64 v[90:91], v[90:91], 2.0, -v[142:143]
	ds_write_b128 v186, v[96:99] offset:832
	ds_write_b128 v186, v[5:8]
	ds_write_b128 v185, v[104:107] offset:832
	ds_write_b128 v185, v[9:12]
	ds_write_b128 v184, v[13:16]
	ds_write_b128 v184, v[116:119] offset:832
	ds_write_b128 v46, v[80:83]
	ds_write_b128 v46, v[120:123] offset:832
	;; [unrolled: 2-line block ×4, first 2 shown]
	s_waitcnt lgkmcnt(0)
	s_barrier
	buffer_gl0_inv
	s_clause 0x1
	global_load_dwordx4 v[80:83], v2, s[14:15] offset:1632
	global_load_dwordx4 v[84:87], v2, s[14:15] offset:1648
	v_lshlrev_b64 v[5:6], 5, v[0:1]
	v_lshrrev_b16 v1, 13, v4
	v_add_co_u32 v5, s0, s14, v5
	v_add_co_ci_u32_e64 v6, s0, s15, v6, s0
	v_mul_lo_u16 v4, 0x68, v1
	s_clause 0x1
	global_load_dwordx4 v[88:91], v[5:6], off offset:1632
	global_load_dwordx4 v[96:99], v[5:6], off offset:1648
	v_mov_b32_e32 v5, 5
	v_sub_nc_u16 v4, v216, v4
	v_lshlrev_b32_sdwa v5, v5, v4 dst_sel:DWORD dst_unused:UNUSED_PAD src0_sel:DWORD src1_sel:BYTE_0
	s_clause 0x1
	global_load_dwordx4 v[120:123], v5, s[14:15] offset:1632
	global_load_dwordx4 v[116:119], v5, s[14:15] offset:1648
	v_lshlrev_b16 v5, 5, v3
	v_and_b32_e32 v5, 0xffff, v5
	v_add_co_u32 v17, s0, s14, v5
	v_add_co_ci_u32_e64 v18, null, s15, 0, s0
	v_cmp_lt_u16_e64 s0, 25, v255
	global_load_dwordx4 v[124:127], v[17:18], off offset:1632
	ds_read_b128 v[5:8], v20 offset:4992
	ds_read_b128 v[9:12], v20 offset:9984
	;; [unrolled: 1-line block ×5, first 2 shown]
	global_load_dwordx4 v[152:155], v[17:18], off offset:1648
	s_waitcnt vmcnt(7) lgkmcnt(4)
	v_mul_f64 v[140:141], v[7:8], v[82:83]
	v_mul_f64 v[142:143], v[5:6], v[82:83]
	s_waitcnt vmcnt(6) lgkmcnt(3)
	v_mul_f64 v[148:149], v[11:12], v[86:87]
	v_mul_f64 v[150:151], v[9:10], v[86:87]
	v_fma_f64 v[140:141], v[5:6], v[80:81], -v[140:141]
	v_fma_f64 v[142:143], v[7:8], v[80:81], v[142:143]
	s_waitcnt vmcnt(5) lgkmcnt(2)
	v_mul_f64 v[5:6], v[15:16], v[90:91]
	v_mul_f64 v[7:8], v[13:14], v[90:91]
	v_fma_f64 v[9:10], v[9:10], v[84:85], -v[148:149]
	v_fma_f64 v[11:12], v[11:12], v[84:85], v[150:151]
	;; [unrolled: 5-line block ×3, first 2 shown]
	s_waitcnt vmcnt(3) lgkmcnt(0)
	v_mul_f64 v[13:14], v[106:107], v[122:123]
	v_mul_f64 v[15:16], v[104:105], v[122:123]
	ds_read_b128 v[5:8], v20 offset:12480
	v_fma_f64 v[148:149], v[100:101], v[96:97], -v[148:149]
	v_fma_f64 v[150:151], v[102:103], v[96:97], v[150:151]
	v_add_f64 v[100:101], v[142:143], -v[11:12]
	v_add_f64 v[102:103], v[140:141], -v[9:10]
	v_fma_f64 v[172:173], v[104:105], v[120:121], -v[13:14]
	v_fma_f64 v[174:175], v[106:107], v[120:121], v[15:16]
	s_waitcnt vmcnt(2) lgkmcnt(0)
	v_mul_f64 v[13:14], v[7:8], v[118:119]
	v_mul_f64 v[15:16], v[5:6], v[118:119]
	v_add_f64 v[104:105], v[168:169], v[148:149]
	v_fma_f64 v[176:177], v[5:6], v[116:117], -v[13:14]
	v_fma_f64 v[178:179], v[7:8], v[116:117], v[15:16]
	ds_read_b128 v[5:8], v20 offset:8736
	v_add_f64 v[15:16], v[142:143], v[11:12]
	s_waitcnt vmcnt(1) lgkmcnt(0)
	v_mul_f64 v[13:14], v[7:8], v[126:127]
	v_fma_f64 v[188:189], v[5:6], v[124:125], -v[13:14]
	v_mul_f64 v[5:6], v[5:6], v[126:127]
	v_fma_f64 v[190:191], v[7:8], v[124:125], v[5:6]
	ds_read_b128 v[5:8], v20 offset:13728
	s_waitcnt vmcnt(0) lgkmcnt(0)
	v_mul_f64 v[13:14], v[7:8], v[154:155]
	v_fma_f64 v[17:18], v[5:6], v[152:153], -v[13:14]
	v_mul_f64 v[5:6], v[5:6], v[154:155]
	v_add_f64 v[13:14], v[140:141], v[9:10]
	v_fma_f64 v[192:193], v[7:8], v[152:153], v[5:6]
	ds_read_b128 v[5:8], v20
	s_waitcnt lgkmcnt(0)
	v_fma_f64 v[13:14], v[13:14], -0.5, v[5:6]
	v_fma_f64 v[15:16], v[15:16], -0.5, v[7:8]
	v_add_f64 v[7:8], v[7:8], v[142:143]
	v_add_f64 v[5:6], v[5:6], v[140:141]
	v_add_f64 v[140:141], v[170:171], -v[150:151]
	v_add_f64 v[196:197], v[190:191], v[192:193]
	v_add_f64 v[7:8], v[7:8], v[11:12]
	;; [unrolled: 1-line block ×3, first 2 shown]
	v_fma_f64 v[9:10], v[100:101], s[4:5], v[13:14]
	v_fma_f64 v[13:14], v[100:101], s[6:7], v[13:14]
	;; [unrolled: 1-line block ×4, first 2 shown]
	ds_read_b128 v[100:103], v20 offset:1248
	s_waitcnt lgkmcnt(0)
	v_fma_f64 v[106:107], v[104:105], -0.5, v[100:101]
	v_add_f64 v[104:105], v[170:171], v[150:151]
	v_add_f64 v[100:101], v[100:101], v[168:169]
	v_fma_f64 v[142:143], v[104:105], -0.5, v[102:103]
	v_add_f64 v[102:103], v[102:103], v[170:171]
	v_add_f64 v[100:101], v[100:101], v[148:149]
	v_add_f64 v[148:149], v[168:169], -v[148:149]
	v_add_f64 v[168:169], v[172:173], v[176:177]
	v_fma_f64 v[104:105], v[140:141], s[4:5], v[106:107]
	v_fma_f64 v[140:141], v[140:141], s[6:7], v[106:107]
	v_add_f64 v[102:103], v[102:103], v[150:151]
	v_fma_f64 v[106:107], v[148:149], s[6:7], v[142:143]
	v_fma_f64 v[142:143], v[148:149], s[4:5], v[142:143]
	ds_read_b128 v[148:151], v20 offset:2496
	s_waitcnt lgkmcnt(0)
	v_fma_f64 v[170:171], v[168:169], -0.5, v[148:149]
	v_add_f64 v[168:169], v[174:175], v[178:179]
	v_add_f64 v[148:149], v[148:149], v[172:173]
	v_fma_f64 v[194:195], v[168:169], -0.5, v[150:151]
	v_add_f64 v[150:151], v[150:151], v[174:175]
	v_add_f64 v[174:175], v[174:175], -v[178:179]
	v_add_f64 v[148:149], v[148:149], v[176:177]
	v_add_f64 v[176:177], v[172:173], -v[176:177]
	v_add_f64 v[150:151], v[150:151], v[178:179]
	v_fma_f64 v[168:169], v[174:175], s[4:5], v[170:171]
	v_fma_f64 v[172:173], v[174:175], s[6:7], v[170:171]
	;; [unrolled: 1-line block ×4, first 2 shown]
	v_add_f64 v[194:195], v[188:189], v[17:18]
	ds_read_b128 v[176:179], v20 offset:3744
	s_waitcnt lgkmcnt(0)
	s_barrier
	buffer_gl0_inv
	ds_write_b128 v20, v[5:8]
	ds_write_b128 v20, v[9:12] offset:1664
	ds_write_b128 v20, v[13:16] offset:3328
	v_cndmask_b32_e64 v5, 0, 0x138, s0
	v_add_co_u32 v2, s0, s14, v2
	v_add_nc_u32_e32 v0, v0, v5
	v_lshl_add_u32 v187, v0, 4, v21
	v_mov_b32_e32 v0, 0x138
	ds_write_b128 v187, v[100:103]
	ds_write_b128 v187, v[104:107] offset:1664
	v_fma_f64 v[194:195], v[194:195], -0.5, v[176:177]
	v_add_f64 v[176:177], v[176:177], v[188:189]
	v_fma_f64 v[196:197], v[196:197], -0.5, v[178:179]
	v_add_f64 v[178:179], v[178:179], v[190:191]
	v_add_f64 v[190:191], v[190:191], -v[192:193]
	v_mul_u32_u24_sdwa v0, v1, v0 dst_sel:DWORD dst_unused:UNUSED_PAD src0_sel:WORD_0 src1_sel:DWORD
	v_and_b32_e32 v1, 0xffff, v3
	ds_write_b128 v187, v[140:143] offset:3328
	v_add_nc_u32_sdwa v0, v0, v4 dst_sel:DWORD dst_unused:UNUSED_PAD src0_sel:DWORD src1_sel:BYTE_0
	v_add_co_ci_u32_e64 v4, null, s15, 0, s0
	v_lshl_add_u32 v237, v1, 4, v21
	v_lshl_add_u32 v236, v0, 4, v21
	v_add_co_u32 v0, s0, 0x1000, v2
	v_add_co_ci_u32_e64 v1, s0, 0, v4, s0
	v_add_f64 v[176:177], v[176:177], v[17:18]
	v_add_f64 v[17:18], v[188:189], -v[17:18]
	v_add_f64 v[178:179], v[178:179], v[192:193]
	v_fma_f64 v[188:189], v[190:191], s[4:5], v[194:195]
	v_fma_f64 v[192:193], v[190:191], s[6:7], v[194:195]
	;; [unrolled: 1-line block ×4, first 2 shown]
	ds_write_b128 v236, v[148:151]
	ds_write_b128 v236, v[168:171] offset:1664
	ds_write_b128 v236, v[172:175] offset:3328
	;; [unrolled: 1-line block ×5, first 2 shown]
	s_waitcnt lgkmcnt(0)
	s_barrier
	buffer_gl0_inv
	global_load_dwordx4 v[100:103], v[0:1], off offset:864
	v_add_co_u32 v0, s0, 0x1360, v2
	v_add_co_ci_u32_e64 v1, s0, 0, v4, s0
	global_load_dwordx4 v[104:107], v[0:1], off offset:16
	v_lshlrev_b32_e32 v0, 4, v212
	v_add_co_u32 v16, s0, s14, v0
	v_add_co_ci_u32_e64 v17, null, s15, 0, s0
	v_add_co_u32 v0, s0, 0x1000, v16
	v_add_co_ci_u32_e64 v1, s0, 0, v17, s0
	v_add_co_u32 v16, s0, 0x1360, v16
	v_add_co_ci_u32_e64 v17, s0, 0, v17, s0
	global_load_dwordx4 v[140:143], v[0:1], off offset:864
	ds_read_b128 v[0:3], v20 offset:4992
	ds_read_b128 v[4:7], v20 offset:9984
	global_load_dwordx4 v[148:151], v[16:17], off offset:16
	s_waitcnt vmcnt(3) lgkmcnt(1)
	v_mul_f64 v[8:9], v[2:3], v[102:103]
	v_mul_f64 v[10:11], v[0:1], v[102:103]
	s_waitcnt vmcnt(2) lgkmcnt(0)
	v_mul_f64 v[12:13], v[6:7], v[106:107]
	v_mul_f64 v[14:15], v[4:5], v[106:107]
	v_fma_f64 v[8:9], v[0:1], v[100:101], -v[8:9]
	v_fma_f64 v[10:11], v[2:3], v[100:101], v[10:11]
	ds_read_b128 v[0:3], v20 offset:6240
	v_fma_f64 v[4:5], v[4:5], v[104:105], -v[12:13]
	v_fma_f64 v[6:7], v[6:7], v[104:105], v[14:15]
	s_waitcnt vmcnt(1) lgkmcnt(0)
	v_mul_f64 v[12:13], v[2:3], v[142:143]
	v_mul_f64 v[14:15], v[0:1], v[142:143]
	v_add_f64 v[196:197], v[8:9], -v[4:5]
	v_fma_f64 v[18:19], v[0:1], v[140:141], -v[12:13]
	v_fma_f64 v[192:193], v[2:3], v[140:141], v[14:15]
	ds_read_b128 v[0:3], v20 offset:11232
	s_waitcnt vmcnt(0) lgkmcnt(0)
	v_mul_f64 v[12:13], v[2:3], v[150:151]
	v_fma_f64 v[16:17], v[0:1], v[148:149], -v[12:13]
	v_mul_f64 v[0:1], v[0:1], v[150:151]
	v_fma_f64 v[194:195], v[2:3], v[148:149], v[0:1]
	v_lshlrev_b32_e32 v0, 5, v216
	v_add_co_u32 v14, s0, s14, v0
	v_add_co_ci_u32_e64 v15, null, s15, 0, s0
	v_add_co_u32 v0, s0, 0x1000, v14
	v_add_co_ci_u32_e64 v1, s0, 0, v15, s0
	global_load_dwordx4 v[168:171], v[0:1], off offset:864
	ds_read_b128 v[0:3], v20 offset:7488
	v_add_f64 v[198:199], v[192:193], v[194:195]
	s_waitcnt vmcnt(0) lgkmcnt(0)
	v_mul_f64 v[12:13], v[2:3], v[170:171]
	v_fma_f64 v[200:201], v[0:1], v[168:169], -v[12:13]
	v_mul_f64 v[0:1], v[0:1], v[170:171]
	v_fma_f64 v[202:203], v[2:3], v[168:169], v[0:1]
	v_add_co_u32 v0, s0, 0x1360, v14
	v_add_co_ci_u32_e64 v1, s0, 0, v15, s0
	global_load_dwordx4 v[172:175], v[0:1], off offset:16
	ds_read_b128 v[0:3], v20 offset:12480
	s_waitcnt vmcnt(0) lgkmcnt(0)
	v_mul_f64 v[12:13], v[2:3], v[174:175]
	v_fma_f64 v[204:205], v[0:1], v[172:173], -v[12:13]
	v_mul_f64 v[0:1], v[0:1], v[174:175]
	v_add_f64 v[208:209], v[200:201], v[204:205]
	v_fma_f64 v[206:207], v[2:3], v[172:173], v[0:1]
	v_lshlrev_b32_e32 v0, 5, v22
	v_add_co_u32 v14, s0, s14, v0
	v_add_co_ci_u32_e64 v15, null, s15, 0, s0
	v_add_co_u32 v0, s0, 0x1000, v14
	v_add_co_ci_u32_e64 v1, s0, 0, v15, s0
	global_load_dwordx4 v[176:179], v[0:1], off offset:864
	ds_read_b128 v[0:3], v20 offset:8736
	v_add_f64 v[210:211], v[202:203], v[206:207]
	s_waitcnt vmcnt(0) lgkmcnt(0)
	v_mul_f64 v[12:13], v[2:3], v[178:179]
	v_fma_f64 v[212:213], v[0:1], v[176:177], -v[12:13]
	v_mul_f64 v[0:1], v[0:1], v[178:179]
	v_fma_f64 v[214:215], v[2:3], v[176:177], v[0:1]
	v_add_co_u32 v0, s0, 0x1360, v14
	v_add_co_ci_u32_e64 v1, s0, 0, v15, s0
	v_add_f64 v[14:15], v[10:11], v[6:7]
	global_load_dwordx4 v[188:191], v[0:1], off offset:16
	ds_read_b128 v[0:3], v20 offset:13728
	s_waitcnt vmcnt(0) lgkmcnt(0)
	v_mul_f64 v[12:13], v[2:3], v[190:191]
	v_fma_f64 v[216:217], v[0:1], v[188:189], -v[12:13]
	v_mul_f64 v[0:1], v[0:1], v[190:191]
	v_add_f64 v[12:13], v[8:9], v[4:5]
	v_add_f64 v[220:221], v[212:213], v[216:217]
	v_fma_f64 v[218:219], v[2:3], v[188:189], v[0:1]
	ds_read_b128 v[0:3], v20
	s_waitcnt lgkmcnt(0)
	v_fma_f64 v[12:13], v[12:13], -0.5, v[0:1]
	v_fma_f64 v[14:15], v[14:15], -0.5, v[2:3]
	v_add_f64 v[2:3], v[2:3], v[10:11]
	v_add_f64 v[0:1], v[0:1], v[8:9]
	v_add_f64 v[10:11], v[10:11], -v[6:7]
	v_add_f64 v[222:223], v[214:215], v[218:219]
	v_add_f64 v[2:3], v[2:3], v[6:7]
	;; [unrolled: 1-line block ×3, first 2 shown]
	v_fma_f64 v[4:5], v[10:11], s[4:5], v[12:13]
	v_fma_f64 v[8:9], v[10:11], s[6:7], v[12:13]
	;; [unrolled: 1-line block ×4, first 2 shown]
	ds_read_b128 v[12:15], v20 offset:1248
	v_add_f64 v[196:197], v[18:19], v[16:17]
	s_waitcnt lgkmcnt(0)
	v_fma_f64 v[198:199], v[198:199], -0.5, v[14:15]
	v_add_f64 v[14:15], v[14:15], v[192:193]
	v_add_f64 v[192:193], v[192:193], -v[194:195]
	v_fma_f64 v[196:197], v[196:197], -0.5, v[12:13]
	v_add_f64 v[12:13], v[12:13], v[18:19]
	v_add_f64 v[14:15], v[14:15], v[194:195]
	v_add_f64 v[194:195], v[18:19], -v[16:17]
	v_add_f64 v[12:13], v[12:13], v[16:17]
	v_fma_f64 v[16:17], v[192:193], s[4:5], v[196:197]
	v_fma_f64 v[192:193], v[192:193], s[6:7], v[196:197]
	;; [unrolled: 1-line block ×4, first 2 shown]
	ds_read_b128 v[196:199], v20 offset:2496
	s_waitcnt lgkmcnt(0)
	v_fma_f64 v[210:211], v[210:211], -0.5, v[198:199]
	v_add_f64 v[198:199], v[198:199], v[202:203]
	v_fma_f64 v[208:209], v[208:209], -0.5, v[196:197]
	v_add_f64 v[196:197], v[196:197], v[200:201]
	v_add_f64 v[202:203], v[202:203], -v[206:207]
	v_add_f64 v[198:199], v[198:199], v[206:207]
	v_add_f64 v[206:207], v[200:201], -v[204:205]
	v_add_f64 v[196:197], v[196:197], v[204:205]
	v_fma_f64 v[200:201], v[202:203], s[4:5], v[208:209]
	v_fma_f64 v[204:205], v[202:203], s[6:7], v[208:209]
	;; [unrolled: 1-line block ×4, first 2 shown]
	ds_read_b128 v[208:211], v20 offset:3744
	ds_write_b128 v20, v[0:3]
	ds_write_b128 v20, v[4:7] offset:4992
	v_lshlrev_b32_e32 v0, 4, v255
	v_add_co_u32 v2, s0, s12, v0
	v_add_co_ci_u32_e64 v3, null, s13, 0, s0
	v_add_co_u32 v0, s0, 0x3800, v2
	v_add_co_ci_u32_e64 v1, s0, 0, v3, s0
	s_waitcnt lgkmcnt(2)
	v_fma_f64 v[222:223], v[222:223], -0.5, v[210:211]
	v_add_f64 v[210:211], v[210:211], v[214:215]
	v_fma_f64 v[220:221], v[220:221], -0.5, v[208:209]
	v_add_f64 v[208:209], v[208:209], v[212:213]
	v_add_f64 v[214:215], v[214:215], -v[218:219]
	v_add_f64 v[210:211], v[210:211], v[218:219]
	v_add_f64 v[218:219], v[212:213], -v[216:217]
	v_add_f64 v[208:209], v[208:209], v[216:217]
	v_fma_f64 v[212:213], v[214:215], s[4:5], v[220:221]
	v_fma_f64 v[216:217], v[214:215], s[6:7], v[220:221]
	;; [unrolled: 1-line block ×4, first 2 shown]
	ds_write_b128 v238, v[8:11] offset:9984
	ds_write_b128 v20, v[12:15] offset:1248
	;; [unrolled: 1-line block ×10, first 2 shown]
	s_waitcnt lgkmcnt(0)
	s_barrier
	buffer_gl0_inv
	global_load_dwordx4 v[4:7], v[0:1], off offset:640
	ds_read_b128 v[8:11], v20
	s_waitcnt vmcnt(0) lgkmcnt(0)
	v_mul_f64 v[0:1], v[10:11], v[6:7]
	v_mul_f64 v[6:7], v[8:9], v[6:7]
	v_fma_f64 v[192:193], v[8:9], v[4:5], -v[0:1]
	v_add_co_u32 v0, s0, 0x5000, v2
	v_add_co_ci_u32_e64 v1, s0, 0, v3, s0
	v_fma_f64 v[194:195], v[10:11], v[4:5], v[6:7]
	ds_read_b128 v[8:11], v20 offset:7488
	global_load_dwordx4 v[4:7], v[0:1], off offset:1984
	s_waitcnt vmcnt(0) lgkmcnt(0)
	v_mul_f64 v[12:13], v[10:11], v[6:7]
	v_mul_f64 v[6:7], v[8:9], v[6:7]
	v_fma_f64 v[196:197], v[8:9], v[4:5], -v[12:13]
	v_fma_f64 v[198:199], v[10:11], v[4:5], v[6:7]
	v_add_co_u32 v4, s0, 0x3a80, v2
	v_add_co_ci_u32_e64 v5, s0, 0, v3, s0
	ds_read_b128 v[8:11], v20 offset:1248
	global_load_dwordx4 v[4:7], v[4:5], off offset:1248
	s_waitcnt vmcnt(0) lgkmcnt(0)
	v_mul_f64 v[12:13], v[10:11], v[6:7]
	v_mul_f64 v[6:7], v[8:9], v[6:7]
	v_fma_f64 v[200:201], v[8:9], v[4:5], -v[12:13]
	v_fma_f64 v[202:203], v[10:11], v[4:5], v[6:7]
	v_add_co_u32 v4, s0, 0x5800, v2
	v_add_co_ci_u32_e64 v5, s0, 0, v3, s0
	;; [unrolled: 9-line block ×3, first 2 shown]
	ds_read_b128 v[8:11], v20 offset:2496
	global_load_dwordx4 v[4:7], v[4:5], off offset:1088
	s_waitcnt vmcnt(0) lgkmcnt(0)
	v_mul_f64 v[12:13], v[10:11], v[6:7]
	v_mul_f64 v[6:7], v[8:9], v[6:7]
	v_fma_f64 v[208:209], v[8:9], v[4:5], -v[12:13]
	v_add_co_u32 v12, s0, 0x6000, v2
	v_add_co_ci_u32_e64 v13, s0, 0, v3, s0
	v_fma_f64 v[210:211], v[10:11], v[4:5], v[6:7]
	ds_read_b128 v[8:11], v20 offset:9984
	global_load_dwordx4 v[4:7], v[12:13], off offset:384
	s_waitcnt vmcnt(0) lgkmcnt(0)
	v_mul_f64 v[14:15], v[10:11], v[6:7]
	v_mul_f64 v[6:7], v[8:9], v[6:7]
	v_fma_f64 v[212:213], v[8:9], v[4:5], -v[14:15]
	v_add_co_u32 v14, s0, 0x4800, v2
	v_add_co_ci_u32_e64 v15, s0, 0, v3, s0
	v_fma_f64 v[214:215], v[10:11], v[4:5], v[6:7]
	ds_read_b128 v[8:11], v20 offset:3744
	global_load_dwordx4 v[4:7], v[14:15], off offset:288
	s_waitcnt vmcnt(0) lgkmcnt(0)
	v_mul_f64 v[16:17], v[10:11], v[6:7]
	v_mul_f64 v[6:7], v[8:9], v[6:7]
	v_fma_f64 v[216:217], v[8:9], v[4:5], -v[16:17]
	v_fma_f64 v[218:219], v[10:11], v[4:5], v[6:7]
	global_load_dwordx4 v[4:7], v[12:13], off offset:1632
	ds_read_b128 v[8:11], v20 offset:11232
	s_waitcnt vmcnt(0) lgkmcnt(0)
	v_mul_f64 v[12:13], v[10:11], v[6:7]
	v_mul_f64 v[6:7], v[8:9], v[6:7]
	v_fma_f64 v[220:221], v[8:9], v[4:5], -v[12:13]
	v_fma_f64 v[222:223], v[10:11], v[4:5], v[6:7]
	global_load_dwordx4 v[4:7], v[14:15], off offset:1536
	ds_read_b128 v[8:11], v20 offset:4992
	s_waitcnt vmcnt(0) lgkmcnt(0)
	v_mul_f64 v[12:13], v[10:11], v[6:7]
	v_mul_f64 v[6:7], v[8:9], v[6:7]
	v_fma_f64 v[224:225], v[8:9], v[4:5], -v[12:13]
	v_fma_f64 v[226:227], v[10:11], v[4:5], v[6:7]
	v_add_co_u32 v4, s0, 0x6800, v2
	v_add_co_ci_u32_e64 v5, s0, 0, v3, s0
	ds_read_b128 v[8:11], v20 offset:12480
	global_load_dwordx4 v[4:7], v[4:5], off offset:832
	s_waitcnt vmcnt(0) lgkmcnt(0)
	v_mul_f64 v[12:13], v[10:11], v[6:7]
	v_mul_f64 v[6:7], v[8:9], v[6:7]
	v_fma_f64 v[228:229], v[8:9], v[4:5], -v[12:13]
	v_fma_f64 v[230:231], v[10:11], v[4:5], v[6:7]
	global_load_dwordx4 v[4:7], v[0:1], off offset:736
	ds_read_b128 v[8:11], v20 offset:6240
	s_waitcnt vmcnt(0) lgkmcnt(0)
	v_mul_f64 v[0:1], v[10:11], v[6:7]
	v_mul_f64 v[12:13], v[8:9], v[6:7]
	v_fma_f64 v[6:7], v[8:9], v[4:5], -v[0:1]
	v_add_co_u32 v0, s0, 0x7000, v2
	v_add_co_ci_u32_e64 v1, s0, 0, v3, s0
	v_fma_f64 v[8:9], v[10:11], v[4:5], v[12:13]
	ds_read_b128 v[10:13], v20 offset:13728
	global_load_dwordx4 v[0:3], v[0:1], off offset:32
	s_waitcnt vmcnt(0) lgkmcnt(0)
	v_mul_f64 v[4:5], v[12:13], v[2:3]
	v_mul_f64 v[14:15], v[10:11], v[2:3]
	v_fma_f64 v[2:3], v[10:11], v[0:1], -v[4:5]
	v_fma_f64 v[4:5], v[12:13], v[0:1], v[14:15]
	ds_write_b128 v20, v[192:195]
	ds_write_b128 v20, v[196:199] offset:7488
	ds_write_b128 v20, v[200:203] offset:1248
	;; [unrolled: 1-line block ×11, first 2 shown]
	s_waitcnt lgkmcnt(0)
	s_barrier
	buffer_gl0_inv
	ds_read_b128 v[0:3], v20
	ds_read_b128 v[4:7], v20 offset:7488
	ds_read_b128 v[8:11], v20 offset:1248
	;; [unrolled: 1-line block ×11, first 2 shown]
	s_waitcnt lgkmcnt(0)
	s_barrier
	buffer_gl0_inv
	v_add_f64 v[4:5], v[0:1], -v[4:5]
	v_add_f64 v[6:7], v[2:3], -v[6:7]
	v_fma_f64 v[0:1], v[0:1], 2.0, -v[4:5]
	v_fma_f64 v[2:3], v[2:3], 2.0, -v[6:7]
	ds_write_b128 v44, v[4:7] offset:16
	ds_write_b128 v44, v[0:3]
	v_add_f64 v[0:1], v[8:9], -v[12:13]
	v_add_f64 v[2:3], v[10:11], -v[14:15]
	v_fma_f64 v[4:5], v[8:9], 2.0, -v[0:1]
	v_fma_f64 v[6:7], v[10:11], 2.0, -v[2:3]
	ds_write_b128 v43, v[4:7]
	ds_write_b128 v43, v[0:3] offset:16
	v_add_f64 v[0:1], v[16:17], -v[192:193]
	v_add_f64 v[2:3], v[18:19], -v[194:195]
	v_fma_f64 v[4:5], v[16:17], 2.0, -v[0:1]
	v_fma_f64 v[6:7], v[18:19], 2.0, -v[2:3]
	ds_write_b128 v42, v[4:7]
	ds_write_b128 v42, v[0:3] offset:16
	;; [unrolled: 6-line block ×5, first 2 shown]
	s_waitcnt lgkmcnt(0)
	s_barrier
	buffer_gl0_inv
	ds_read_b128 v[0:3], v20 offset:7488
	s_waitcnt lgkmcnt(0)
	v_mul_f64 v[4:5], v[94:95], v[2:3]
	v_fma_f64 v[4:5], v[92:93], v[0:1], v[4:5]
	v_mul_f64 v[0:1], v[94:95], v[0:1]
	v_fma_f64 v[6:7], v[92:93], v[2:3], -v[0:1]
	ds_read_b128 v[0:3], v20 offset:8736
	s_waitcnt lgkmcnt(0)
	v_mul_f64 v[8:9], v[94:95], v[2:3]
	v_fma_f64 v[8:9], v[92:93], v[0:1], v[8:9]
	v_mul_f64 v[0:1], v[94:95], v[0:1]
	v_fma_f64 v[10:11], v[92:93], v[2:3], -v[0:1]
	;; [unrolled: 6-line block ×6, first 2 shown]
	ds_read_b128 v[0:3], v20
	s_waitcnt lgkmcnt(0)
	v_add_f64 v[192:193], v[0:1], -v[4:5]
	v_add_f64 v[194:195], v[2:3], -v[6:7]
	v_fma_f64 v[92:93], v[0:1], 2.0, -v[192:193]
	v_fma_f64 v[94:95], v[2:3], 2.0, -v[194:195]
	ds_read_b128 v[0:3], v20 offset:1248
	s_waitcnt lgkmcnt(0)
	v_add_f64 v[200:201], v[0:1], -v[8:9]
	v_add_f64 v[202:203], v[2:3], -v[10:11]
	v_fma_f64 v[196:197], v[0:1], 2.0, -v[200:201]
	v_fma_f64 v[198:199], v[2:3], 2.0, -v[202:203]
	ds_read_b128 v[0:3], v20 offset:2496
	s_waitcnt lgkmcnt(0)
	v_add_f64 v[212:213], v[0:1], -v[12:13]
	v_add_f64 v[214:215], v[2:3], -v[14:15]
	v_fma_f64 v[204:205], v[0:1], 2.0, -v[212:213]
	v_fma_f64 v[206:207], v[2:3], 2.0, -v[214:215]
	ds_read_b128 v[0:3], v20 offset:3744
	s_waitcnt lgkmcnt(0)
	v_add_f64 v[228:229], v[0:1], -v[16:17]
	v_add_f64 v[230:231], v[2:3], -v[18:19]
	v_fma_f64 v[224:225], v[0:1], 2.0, -v[228:229]
	v_fma_f64 v[226:227], v[2:3], 2.0, -v[230:231]
	ds_read_b128 v[0:3], v20 offset:4992
	s_waitcnt lgkmcnt(0)
	v_add_f64 v[216:217], v[0:1], -v[208:209]
	v_add_f64 v[218:219], v[2:3], -v[210:211]
	v_fma_f64 v[220:221], v[0:1], 2.0, -v[216:217]
	v_fma_f64 v[222:223], v[2:3], 2.0, -v[218:219]
	ds_read_b128 v[0:3], v20 offset:6240
	s_waitcnt lgkmcnt(0)
	s_barrier
	buffer_gl0_inv
	v_add_f64 v[208:209], v[0:1], -v[232:233]
	v_add_f64 v[210:211], v[2:3], -v[234:235]
	v_fma_f64 v[232:233], v[0:1], 2.0, -v[208:209]
	v_fma_f64 v[234:235], v[2:3], 2.0, -v[210:211]
	ds_write_b128 v38, v[192:195] offset:32
	ds_write_b128 v38, v[92:95]
	ds_write_b128 v37, v[196:199]
	ds_write_b128 v37, v[200:203] offset:32
	ds_write_b128 v75, v[204:207]
	ds_write_b128 v75, v[212:215] offset:32
	ds_write_b128 v74, v[224:227]
	ds_write_b128 v74, v[228:231] offset:32
	ds_write_b128 v73, v[220:223]
	ds_write_b128 v73, v[216:219] offset:32
	ds_write_b128 v72, v[232:235]
	ds_write_b128 v72, v[208:211] offset:32
	s_waitcnt lgkmcnt(0)
	s_barrier
	buffer_gl0_inv
	s_and_saveexec_b32 s0, vcc_lo
	s_cbranch_execz .LBB0_7
; %bb.6:
	ds_read_b128 v[92:95], v20
	ds_read_b128 v[192:195], v20 offset:1152
	ds_read_b128 v[196:199], v20 offset:2304
	ds_read_b128 v[200:203], v20 offset:3456
	ds_read_b128 v[204:207], v20 offset:4608
	ds_read_b128 v[212:215], v20 offset:5760
	ds_read_b128 v[224:227], v20 offset:6912
	ds_read_b128 v[228:231], v20 offset:8064
	ds_read_b128 v[220:223], v20 offset:9216
	ds_read_b128 v[216:219], v20 offset:10368
	ds_read_b128 v[232:235], v20 offset:11520
	ds_read_b128 v[208:211], v20 offset:12672
	ds_read_b128 v[164:167], v20 offset:13824
.LBB0_7:
	s_or_b32 exec_lo, exec_lo, s0
	v_add_nc_u32_e32 v240, 0x9c0, v20
	v_add_nc_u32_e32 v239, 0xea0, v20
	s_waitcnt lgkmcnt(0)
	s_barrier
	buffer_gl0_inv
	s_and_saveexec_b32 s33, vcc_lo
	s_cbranch_execz .LBB0_9
; %bb.8:
	v_mul_f64 v[0:1], v[182:183], v[226:227]
	v_mul_f64 v[12:13], v[35:36], v[192:193]
	s_mov_b32 s26, 0x4bc48dbf
	s_mov_b32 s27, 0xbfcea1e5
	;; [unrolled: 1-line block ×20, first 2 shown]
	v_fma_f64 v[2:3], v[180:181], v[224:225], v[0:1]
	v_mul_f64 v[0:1], v[31:32], v[230:231]
	s_mov_b32 s23, 0x3fefc445
	s_mov_b32 s5, 0xbfd6b1d8
	;; [unrolled: 1-line block ×12, first 2 shown]
	v_mov_b32_e32 v51, v236
	v_mov_b32_e32 v236, v255
	;; [unrolled: 1-line block ×6, first 2 shown]
	v_fma_f64 v[0:1], v[29:30], v[228:229], v[0:1]
	v_mov_b32_e32 v37, v2
	buffer_store_dword v37, off, s[48:51], 0 offset:256 ; 4-byte Folded Spill
	buffer_store_dword v38, off, s[48:51], 0 offset:260 ; 4-byte Folded Spill
	v_mov_b32_e32 v25, v1
	v_add_f64 v[49:50], v[2:3], -v[0:1]
	v_mov_b32_e32 v24, v0
	v_mul_f64 v[0:1], v[182:183], v[224:225]
	v_mul_f64 v[2:3], v[158:159], v[214:215]
	buffer_store_dword v24, off, s[48:51], 0 offset:248 ; 4-byte Folded Spill
	buffer_store_dword v25, off, s[48:51], 0 offset:252 ; 4-byte Folded Spill
	v_mul_f64 v[18:19], v[49:50], s[22:23]
	v_fma_f64 v[224:225], v[180:181], v[226:227], -v[0:1]
	v_fma_f64 v[226:227], v[156:157], v[212:213], v[2:3]
	v_mul_f64 v[2:3], v[162:163], v[222:223]
	v_mul_f64 v[0:1], v[31:32], v[228:229]
	v_fma_f64 v[2:3], v[160:161], v[220:221], v[2:3]
	v_fma_f64 v[228:229], v[29:30], v[230:231], -v[0:1]
	v_mov_b32_e32 v30, v3
	v_add_f64 v[74:75], v[226:227], -v[2:3]
	v_mov_b32_e32 v29, v2
	v_mul_f64 v[2:3], v[158:159], v[212:213]
	buffer_store_dword v29, off, s[48:51], 0 offset:240 ; 4-byte Folded Spill
	buffer_store_dword v30, off, s[48:51], 0 offset:244 ; 4-byte Folded Spill
	v_add_f64 v[180:181], v[224:225], v[228:229]
	v_mul_f64 v[22:23], v[74:75], s[14:15]
	v_fma_f64 v[230:231], v[156:157], v[214:215], -v[2:3]
	v_mul_f64 v[2:3], v[162:163], v[220:221]
	v_fma_f64 v[0:1], v[180:181], s[0:1], v[18:19]
	v_fma_f64 v[18:19], v[180:181], s[0:1], -v[18:19]
	v_fma_f64 v[220:221], v[160:161], v[222:223], -v[2:3]
	v_mul_f64 v[2:3], v[138:139], v[206:207]
	v_add_f64 v[182:183], v[230:231], v[220:221]
	v_fma_f64 v[214:215], v[136:137], v[204:205], v[2:3]
	v_mul_f64 v[2:3], v[146:147], v[218:219]
	v_fma_f64 v[4:5], v[182:183], s[4:5], v[22:23]
	v_fma_f64 v[22:23], v[182:183], s[4:5], -v[22:23]
	v_fma_f64 v[212:213], v[144:145], v[216:217], v[2:3]
	v_mul_f64 v[2:3], v[138:139], v[204:205]
	v_add_f64 v[249:250], v[214:215], -v[212:213]
	v_fma_f64 v[222:223], v[136:137], v[206:207], -v[2:3]
	v_mul_f64 v[2:3], v[146:147], v[216:217]
	v_add_f64 v[239:240], v[214:215], v[212:213]
	v_mul_f64 v[156:157], v[249:250], s[30:31]
	v_fma_f64 v[206:207], v[144:145], v[218:219], -v[2:3]
	v_mul_f64 v[2:3], v[130:131], v[202:203]
	v_add_f64 v[243:244], v[222:223], v[206:207]
	v_fma_f64 v[204:205], v[128:129], v[200:201], v[2:3]
	v_mul_f64 v[2:3], v[134:135], v[234:235]
	v_fma_f64 v[6:7], v[243:244], s[6:7], v[156:157]
	v_fma_f64 v[2:3], v[132:133], v[232:233], v[2:3]
	v_mov_b32_e32 v15, v3
	v_add_f64 v[251:252], v[204:205], -v[2:3]
	v_mov_b32_e32 v14, v2
	v_mul_f64 v[2:3], v[130:131], v[200:201]
	buffer_store_dword v14, off, s[48:51], 0 offset:232 ; 4-byte Folded Spill
	buffer_store_dword v15, off, s[48:51], 0 offset:236 ; 4-byte Folded Spill
	v_mul_f64 v[136:137], v[251:252], s[18:19]
	v_fma_f64 v[216:217], v[128:129], v[202:203], -v[2:3]
	v_mul_f64 v[2:3], v[134:135], v[232:233]
	v_fma_f64 v[202:203], v[132:133], v[234:235], -v[2:3]
	v_mul_f64 v[2:3], v[110:111], v[198:199]
	v_add_f64 v[232:233], v[216:217], v[202:203]
	v_fma_f64 v[200:201], v[108:109], v[196:197], v[2:3]
	v_mul_f64 v[2:3], v[114:115], v[210:211]
	v_fma_f64 v[8:9], v[232:233], s[12:13], v[136:137]
	v_fma_f64 v[2:3], v[112:113], v[208:209], v[2:3]
	v_mov_b32_e32 v17, v3
	v_mov_b32_e32 v16, v2
	buffer_store_dword v16, off, s[48:51], 0 offset:224 ; 4-byte Folded Spill
	buffer_store_dword v17, off, s[48:51], 0 offset:228 ; 4-byte Folded Spill
	v_add_f64 v[234:235], v[200:201], -v[2:3]
	v_mul_f64 v[2:3], v[110:111], v[196:197]
	buffer_store_dword v237, off, s[48:51], 0 offset:200 ; 4-byte Folded Spill
	buffer_store_dword v238, off, s[48:51], 0 offset:204 ; 4-byte Folded Spill
	v_add_f64 v[237:238], v[226:227], v[29:30]
	v_mul_f64 v[128:129], v[234:235], s[20:21]
	v_fma_f64 v[218:219], v[108:109], v[198:199], -v[2:3]
	v_mul_f64 v[2:3], v[114:115], v[208:209]
	v_fma_f64 v[198:199], v[112:113], v[210:211], -v[2:3]
	v_mul_f64 v[2:3], v[35:36], v[194:195]
	v_add_f64 v[210:211], v[218:219], v[198:199]
	v_fma_f64 v[208:209], v[33:34], v[192:193], v[2:3]
	v_mul_f64 v[2:3], v[78:79], v[166:167]
	v_fma_f64 v[192:193], v[33:34], v[194:195], -v[12:13]
	v_mul_f64 v[12:13], v[78:79], v[164:165]
	v_fma_f64 v[10:11], v[210:211], s[16:17], v[128:129]
	v_fma_f64 v[128:129], v[210:211], s[16:17], -v[128:129]
	v_fma_f64 v[196:197], v[76:77], v[164:165], v[2:3]
	v_add_f64 v[164:165], v[224:225], -v[228:229]
	v_fma_f64 v[194:195], v[76:77], v[166:167], -v[12:13]
	v_add_f64 v[2:3], v[208:209], -v[196:197]
	v_mul_f64 v[76:77], v[164:165], s[22:23]
	v_add_f64 v[253:254], v[192:193], v[194:195]
	v_mul_f64 v[108:109], v[2:3], s[26:27]
	v_fma_f64 v[12:13], v[253:254], s[24:25], v[108:109]
	v_fma_f64 v[108:109], v[253:254], s[24:25], -v[108:109]
	v_add_f64 v[12:13], v[94:95], v[12:13]
	v_add_f64 v[108:109], v[94:95], v[108:109]
	;; [unrolled: 1-line block ×4, first 2 shown]
	v_add_f64 v[14:15], v[218:219], -v[198:199]
	v_add_f64 v[12:13], v[216:217], -v[202:203]
	v_add_f64 v[108:109], v[128:129], v[108:109]
	v_mul_f64 v[128:129], v[251:252], s[28:29]
	v_add_f64 v[8:9], v[8:9], v[10:11]
	v_add_f64 v[10:11], v[222:223], -v[206:207]
	v_mul_f64 v[134:135], v[14:15], s[20:21]
	v_mul_f64 v[130:131], v[12:13], s[18:19]
	;; [unrolled: 1-line block ×4, first 2 shown]
	v_add_f64 v[6:7], v[6:7], v[8:9]
	v_add_f64 v[8:9], v[230:231], -v[220:221]
	v_mul_f64 v[112:113], v[10:11], s[30:31]
	v_fma_f64 v[132:133], v[241:242], s[12:13], -v[130:131]
	v_add_f64 v[4:5], v[4:5], v[6:7]
	v_add_f64 v[6:7], v[208:209], v[196:197]
	v_mul_f64 v[110:111], v[8:9], s[14:15]
	v_fma_f64 v[114:115], v[239:240], s[6:7], -v[112:113]
	v_add_f64 v[31:32], v[0:1], v[4:5]
	v_add_f64 v[0:1], v[37:38], v[24:25]
	v_fma_f64 v[78:79], v[237:238], s[4:5], -v[110:111]
	v_mul_f64 v[24:25], v[14:15], s[36:37]
	v_fma_f64 v[72:73], v[0:1], s[0:1], -v[76:77]
	v_add_f64 v[4:5], v[200:201], v[16:17]
	v_add_f64 v[16:17], v[192:193], -v[194:195]
	v_fma_f64 v[138:139], v[4:5], s[16:17], -v[134:135]
	v_mul_f64 v[144:145], v[16:17], s[26:27]
	v_mul_f64 v[162:163], v[16:17], s[18:19]
	v_fma_f64 v[160:161], v[4:5], s[0:1], -v[158:159]
	v_mul_f64 v[36:37], v[16:17], s[34:35]
	v_mul_f64 v[44:45], v[16:17], s[28:29]
	v_fma_f64 v[42:43], v[4:5], s[4:5], -v[40:41]
	v_fma_f64 v[146:147], v[6:7], s[24:25], -v[144:145]
	;; [unrolled: 1-line block ×4, first 2 shown]
	v_add_f64 v[146:147], v[92:93], v[146:147]
	v_add_f64 v[166:167], v[92:93], v[166:167]
	;; [unrolled: 1-line block ×4, first 2 shown]
	v_mul_f64 v[146:147], v[12:13], s[28:29]
	v_add_f64 v[160:161], v[160:161], v[166:167]
	v_add_f64 v[132:133], v[132:133], v[138:139]
	;; [unrolled: 1-line block ×3, first 2 shown]
	v_mul_f64 v[132:133], v[234:235], s[22:23]
	v_add_f64 v[78:79], v[78:79], v[114:115]
	v_fma_f64 v[114:115], v[232:233], s[12:13], -v[136:137]
	v_mul_f64 v[136:137], v[2:3], s[18:19]
	v_add_f64 v[29:30], v[72:73], v[78:79]
	v_fma_f64 v[78:79], v[243:244], s[6:7], -v[156:157]
	v_add_f64 v[108:109], v[114:115], v[108:109]
	v_fma_f64 v[138:139], v[253:254], s[12:13], v[136:137]
	v_mul_f64 v[114:115], v[249:250], s[38:39]
	v_fma_f64 v[156:157], v[241:242], s[6:7], -v[146:147]
	buffer_store_dword v29, off, s[48:51], 0 offset:208 ; 4-byte Folded Spill
	buffer_store_dword v30, off, s[48:51], 0 offset:212 ; 4-byte Folded Spill
	buffer_store_dword v31, off, s[48:51], 0 offset:216 ; 4-byte Folded Spill
	buffer_store_dword v32, off, s[48:51], 0 offset:220 ; 4-byte Folded Spill
	v_mov_b32_e32 v73, v28
	v_add_f64 v[78:79], v[78:79], v[108:109]
	v_fma_f64 v[108:109], v[241:242], s[12:13], v[130:131]
	v_add_f64 v[138:139], v[94:95], v[138:139]
	v_fma_f64 v[130:131], v[232:233], s[6:7], v[128:129]
	v_add_f64 v[156:157], v[156:157], v[160:161]
	v_fma_f64 v[128:129], v[232:233], s[6:7], -v[128:129]
	v_mul_f64 v[28:29], v[16:17], s[14:15]
	v_mov_b32_e32 v72, v27
	v_fma_f64 v[26:27], v[4:5], s[12:13], -v[24:25]
	v_fma_f64 v[24:25], v[4:5], s[12:13], v[24:25]
	v_mul_f64 v[32:33], v[14:15], s[26:27]
	buffer_store_dword v21, off, s[48:51], 0 offset:264 ; 4-byte Folded Spill
	v_mov_b32_e32 v21, v185
	v_mov_b32_e32 v185, v186
	;; [unrolled: 1-line block ×4, first 2 shown]
	v_fma_f64 v[46:47], v[6:7], s[6:7], -v[44:45]
	v_mul_f64 v[14:15], v[14:15], s[28:29]
	v_add_f64 v[22:23], v[22:23], v[78:79]
	v_fma_f64 v[30:31], v[6:7], s[4:5], -v[28:29]
	v_fma_f64 v[28:29], v[6:7], s[4:5], v[28:29]
	v_fma_f64 v[34:35], v[4:5], s[24:25], -v[32:33]
	v_add_f64 v[46:47], v[92:93], v[46:47]
	v_add_f64 v[78:79], v[18:19], v[22:23]
	v_fma_f64 v[18:19], v[0:1], s[0:1], v[76:77]
	v_fma_f64 v[76:77], v[239:240], s[6:7], v[112:113]
	;; [unrolled: 1-line block ×6, first 2 shown]
	v_fma_f64 v[132:133], v[210:211], s[0:1], -v[132:133]
	v_add_f64 v[30:31], v[92:93], v[30:31]
	v_add_f64 v[28:29], v[92:93], v[28:29]
	;; [unrolled: 1-line block ×4, first 2 shown]
	v_mov_b32_e32 v47, v184
	v_mov_b32_e32 v184, v186
	;; [unrolled: 1-line block ×6, first 2 shown]
	v_add_f64 v[112:113], v[92:93], v[112:113]
	v_add_f64 v[134:135], v[134:135], v[138:139]
	v_mul_f64 v[138:139], v[10:11], s[38:39]
	v_add_f64 v[26:27], v[26:27], v[30:31]
	v_add_f64 v[24:25], v[24:25], v[28:29]
	v_mul_f64 v[28:29], v[249:250], s[20:21]
	v_add_f64 v[110:111], v[110:111], v[112:113]
	v_mul_f64 v[112:113], v[74:75], s[20:21]
	v_add_f64 v[130:131], v[130:131], v[134:135]
	v_fma_f64 v[144:145], v[239:240], s[24:25], -v[138:139]
	v_add_f64 v[108:109], v[108:109], v[110:111]
	v_fma_f64 v[110:111], v[243:244], s[24:25], v[114:115]
	v_fma_f64 v[114:115], v[243:244], s[24:25], -v[114:115]
	v_add_f64 v[144:145], v[144:145], v[156:157]
	v_mul_f64 v[156:157], v[2:3], s[14:15]
	v_add_f64 v[76:77], v[76:77], v[108:109]
	v_fma_f64 v[108:109], v[182:183], s[16:17], v[112:113]
	v_add_f64 v[110:111], v[110:111], v[130:131]
	v_mul_f64 v[130:131], v[8:9], s[20:21]
	v_fma_f64 v[112:113], v[182:183], s[16:17], -v[112:113]
	v_add_f64 v[22:23], v[22:23], v[76:77]
	v_add_f64 v[108:109], v[108:109], v[110:111]
	v_fma_f64 v[134:135], v[237:238], s[16:17], -v[130:131]
	v_add_f64 v[76:77], v[18:19], v[22:23]
	v_mul_f64 v[18:19], v[49:50], s[14:15]
	v_add_f64 v[134:135], v[134:135], v[144:145]
	v_mul_f64 v[144:145], v[234:235], s[36:37]
	v_fma_f64 v[22:23], v[180:181], s[4:5], v[18:19]
	v_fma_f64 v[18:19], v[180:181], s[4:5], -v[18:19]
	v_add_f64 v[110:111], v[22:23], v[108:109]
	v_mul_f64 v[22:23], v[164:165], s[14:15]
	v_fma_f64 v[108:109], v[0:1], s[4:5], -v[22:23]
	v_add_f64 v[108:109], v[108:109], v[134:135]
	v_fma_f64 v[134:135], v[253:254], s[12:13], -v[136:137]
	v_mul_f64 v[136:137], v[251:252], s[20:21]
	v_add_f64 v[134:135], v[94:95], v[134:135]
	v_add_f64 v[132:133], v[132:133], v[134:135]
	v_mul_f64 v[134:135], v[249:250], s[34:35]
	v_add_f64 v[128:129], v[128:129], v[132:133]
	v_fma_f64 v[132:133], v[6:7], s[12:13], v[162:163]
	v_mul_f64 v[162:163], v[12:13], s[20:21]
	v_fma_f64 v[30:31], v[243:244], s[0:1], -v[134:135]
	v_add_f64 v[114:115], v[114:115], v[128:129]
	v_add_f64 v[132:133], v[92:93], v[132:133]
	v_fma_f64 v[128:129], v[241:242], s[6:7], v[146:147]
	v_fma_f64 v[146:147], v[210:211], s[12:13], v[144:145]
	v_fma_f64 v[166:167], v[241:242], s[16:17], -v[162:163]
	v_add_f64 v[112:113], v[112:113], v[114:115]
	v_add_f64 v[26:27], v[166:167], v[26:27]
	;; [unrolled: 1-line block ×3, first 2 shown]
	v_fma_f64 v[18:19], v[0:1], s[4:5], v[22:23]
	v_fma_f64 v[22:23], v[237:238], s[16:17], v[130:131]
	;; [unrolled: 1-line block ×6, first 2 shown]
	v_add_f64 v[130:131], v[130:131], v[132:133]
	v_add_f64 v[158:159], v[94:95], v[158:159]
	v_mul_f64 v[132:133], v[74:75], s[38:39]
	v_add_f64 v[128:129], v[128:129], v[130:131]
	v_add_f64 v[146:147], v[146:147], v[158:159]
	v_fma_f64 v[130:131], v[243:244], s[0:1], v[134:135]
	v_mul_f64 v[158:159], v[10:11], s[34:35]
	v_fma_f64 v[134:135], v[210:211], s[12:13], -v[144:145]
	v_add_f64 v[112:113], v[112:113], v[128:129]
	v_add_f64 v[138:139], v[138:139], v[146:147]
	v_fma_f64 v[128:129], v[182:183], s[24:25], v[132:133]
	v_fma_f64 v[160:161], v[239:240], s[0:1], -v[158:159]
	v_add_f64 v[22:23], v[22:23], v[112:113]
	v_add_f64 v[130:131], v[130:131], v[138:139]
	v_mul_f64 v[138:139], v[8:9], s[38:39]
	v_add_f64 v[26:27], v[160:161], v[26:27]
	v_add_f64 v[112:113], v[18:19], v[22:23]
	v_mul_f64 v[18:19], v[49:50], s[30:31]
	v_add_f64 v[128:129], v[128:129], v[130:131]
	v_fma_f64 v[146:147], v[237:238], s[24:25], -v[138:139]
	v_fma_f64 v[22:23], v[180:181], s[6:7], v[18:19]
	v_fma_f64 v[18:19], v[180:181], s[6:7], -v[18:19]
	v_add_f64 v[26:27], v[146:147], v[26:27]
	v_mul_f64 v[146:147], v[234:235], s[26:27]
	v_add_f64 v[130:131], v[22:23], v[128:129]
	v_mul_f64 v[22:23], v[164:165], s[30:31]
	s_mov_b32 s31, 0x3fedeba7
	s_mov_b32 s30, s14
	v_mul_f64 v[144:145], v[251:252], s[30:31]
	v_fma_f64 v[128:129], v[0:1], s[6:7], -v[22:23]
	v_add_f64 v[128:129], v[128:129], v[26:27]
	v_fma_f64 v[26:27], v[182:183], s[24:25], -v[132:133]
	v_fma_f64 v[132:133], v[232:233], s[16:17], -v[136:137]
	;; [unrolled: 1-line block ×3, first 2 shown]
	v_mul_f64 v[156:157], v[2:3], s[34:35]
	v_add_f64 v[136:137], v[94:95], v[136:137]
	v_fma_f64 v[38:39], v[253:254], s[0:1], -v[156:157]
	v_add_f64 v[134:135], v[134:135], v[136:137]
	v_fma_f64 v[136:137], v[232:233], s[4:5], v[144:145]
	v_add_f64 v[38:39], v[94:95], v[38:39]
	v_add_f64 v[132:133], v[132:133], v[134:135]
	;; [unrolled: 1-line block ×4, first 2 shown]
	v_fma_f64 v[30:31], v[241:242], s[16:17], v[162:163]
	v_mul_f64 v[162:163], v[12:13], s[30:31]
	v_add_f64 v[134:135], v[18:19], v[26:27]
	v_fma_f64 v[26:27], v[239:240], s[0:1], v[158:159]
	v_fma_f64 v[158:159], v[253:254], s[0:1], v[156:157]
	;; [unrolled: 1-line block ×4, first 2 shown]
	v_add_f64 v[24:25], v[30:31], v[24:25]
	v_fma_f64 v[138:139], v[210:211], s[24:25], v[146:147]
	v_fma_f64 v[30:31], v[243:244], s[16:17], v[28:29]
	v_fma_f64 v[166:167], v[241:242], s[4:5], -v[162:163]
	v_add_f64 v[158:159], v[94:95], v[158:159]
	v_add_f64 v[24:25], v[26:27], v[24:25]
	;; [unrolled: 1-line block ×3, first 2 shown]
	v_mul_f64 v[166:167], v[12:13], s[26:27]
	v_mul_f64 v[12:13], v[12:13], s[34:35]
	v_add_f64 v[138:139], v[138:139], v[158:159]
	v_mul_f64 v[158:159], v[10:11], s[20:21]
	v_add_f64 v[22:23], v[22:23], v[24:25]
	;; [unrolled: 2-line block ×3, first 2 shown]
	v_fma_f64 v[160:161], v[239:240], s[16:17], -v[158:159]
	v_add_f64 v[132:133], v[18:19], v[22:23]
	v_mul_f64 v[18:19], v[49:50], s[18:19]
	v_fma_f64 v[26:27], v[182:183], s[6:7], v[24:25]
	v_fma_f64 v[24:25], v[182:183], s[6:7], -v[24:25]
	v_add_f64 v[30:31], v[30:31], v[136:137]
	v_add_f64 v[34:35], v[160:161], v[34:35]
	v_mul_f64 v[160:161], v[2:3], s[28:29]
	v_fma_f64 v[22:23], v[180:181], s[12:13], v[18:19]
	v_fma_f64 v[18:19], v[180:181], s[12:13], -v[18:19]
	v_add_f64 v[26:27], v[26:27], v[30:31]
	v_mul_f64 v[30:31], v[8:9], s[28:29]
	v_fma_f64 v[156:157], v[253:254], s[6:7], v[160:161]
	v_add_f64 v[138:139], v[22:23], v[26:27]
	v_mul_f64 v[22:23], v[164:165], s[18:19]
	v_fma_f64 v[136:137], v[237:238], s[6:7], -v[30:31]
	v_add_f64 v[156:157], v[94:95], v[156:157]
	v_fma_f64 v[26:27], v[0:1], s[12:13], -v[22:23]
	v_add_f64 v[34:35], v[136:137], v[34:35]
	v_add_f64 v[136:137], v[26:27], v[34:35]
	v_fma_f64 v[34:35], v[210:211], s[24:25], -v[146:147]
	v_fma_f64 v[26:27], v[243:244], s[16:17], -v[28:29]
	;; [unrolled: 1-line block ×3, first 2 shown]
	v_add_f64 v[34:35], v[34:35], v[38:39]
	v_add_f64 v[28:29], v[28:29], v[34:35]
	;; [unrolled: 1-line block ×3, first 2 shown]
	v_fma_f64 v[28:29], v[4:5], s[24:25], v[32:33]
	v_mul_f64 v[32:33], v[251:252], s[26:27]
	v_add_f64 v[24:25], v[24:25], v[26:27]
	v_fma_f64 v[26:27], v[241:242], s[4:5], v[162:163]
	v_fma_f64 v[34:35], v[232:233], s[24:25], v[32:33]
	v_fma_f64 v[162:163], v[241:242], s[24:25], -v[166:167]
	v_add_f64 v[146:147], v[18:19], v[24:25]
	v_fma_f64 v[18:19], v[0:1], s[12:13], v[22:23]
	v_fma_f64 v[22:23], v[237:238], s[6:7], v[30:31]
	;; [unrolled: 1-line block ×3, first 2 shown]
	v_mul_f64 v[36:37], v[234:235], s[14:15]
	v_fma_f64 v[24:25], v[239:240], s[16:17], v[158:159]
	v_add_f64 v[42:43], v[162:163], v[42:43]
	v_add_f64 v[30:31], v[92:93], v[30:31]
	v_fma_f64 v[38:39], v[210:211], s[4:5], v[36:37]
	v_add_f64 v[28:29], v[28:29], v[30:31]
	v_add_f64 v[38:39], v[38:39], v[156:157]
	;; [unrolled: 1-line block ×3, first 2 shown]
	v_mul_f64 v[28:29], v[249:250], s[36:37]
	v_add_f64 v[34:35], v[34:35], v[38:39]
	v_mul_f64 v[38:39], v[10:11], s[36:37]
	v_mul_f64 v[10:11], v[10:11], s[14:15]
	v_add_f64 v[24:25], v[24:25], v[26:27]
	v_fma_f64 v[30:31], v[243:244], s[12:13], v[28:29]
	v_fma_f64 v[156:157], v[239:240], s[12:13], -v[38:39]
	v_add_f64 v[22:23], v[22:23], v[24:25]
	v_mul_f64 v[24:25], v[74:75], s[22:23]
	v_add_f64 v[30:31], v[30:31], v[34:35]
	v_add_f64 v[42:43], v[156:157], v[42:43]
	;; [unrolled: 1-line block ×3, first 2 shown]
	v_mul_f64 v[18:19], v[49:50], s[20:21]
	v_fma_f64 v[26:27], v[182:183], s[0:1], v[24:25]
	v_fma_f64 v[24:25], v[182:183], s[0:1], -v[24:25]
	v_fma_f64 v[22:23], v[180:181], s[16:17], v[18:19]
	v_add_f64 v[26:27], v[26:27], v[30:31]
	v_mul_f64 v[30:31], v[8:9], s[22:23]
	v_fma_f64 v[18:19], v[180:181], s[16:17], -v[18:19]
	v_mul_f64 v[8:9], v[8:9], s[18:19]
	v_add_f64 v[158:159], v[22:23], v[26:27]
	v_mul_f64 v[22:23], v[164:165], s[20:21]
	v_fma_f64 v[34:35], v[237:238], s[0:1], -v[30:31]
	s_mov_b32 s21, 0xbfddbe06
	v_mul_f64 v[2:3], v[2:3], s[20:21]
	v_mul_f64 v[16:17], v[16:17], s[20:21]
	v_fma_f64 v[26:27], v[0:1], s[16:17], -v[22:23]
	v_add_f64 v[34:35], v[34:35], v[42:43]
	v_fma_f64 v[42:43], v[6:7], s[16:17], -v[16:17]
	v_add_f64 v[156:157], v[26:27], v[34:35]
	v_fma_f64 v[34:35], v[253:254], s[6:7], -v[160:161]
	v_fma_f64 v[26:27], v[243:244], s[12:13], -v[28:29]
	;; [unrolled: 1-line block ×4, first 2 shown]
	v_mul_f64 v[36:37], v[234:235], s[28:29]
	v_add_f64 v[42:43], v[92:93], v[42:43]
	v_add_f64 v[34:35], v[94:95], v[34:35]
	;; [unrolled: 1-line block ×4, first 2 shown]
	v_mul_f64 v[32:33], v[251:252], s[34:35]
	v_add_f64 v[26:27], v[26:27], v[28:29]
	v_fma_f64 v[28:29], v[4:5], s[4:5], v[40:41]
	v_fma_f64 v[40:41], v[253:254], s[16:17], v[2:3]
	;; [unrolled: 1-line block ×3, first 2 shown]
	v_fma_f64 v[2:3], v[253:254], s[16:17], -v[2:3]
	v_add_f64 v[24:25], v[24:25], v[26:27]
	v_fma_f64 v[26:27], v[241:242], s[24:25], v[166:167]
	v_add_f64 v[40:41], v[94:95], v[40:41]
	v_add_f64 v[2:3], v[94:95], v[2:3]
	;; [unrolled: 1-line block ×3, first 2 shown]
	v_fma_f64 v[18:19], v[0:1], s[16:17], v[22:23]
	v_fma_f64 v[22:23], v[237:238], s[0:1], v[30:31]
	;; [unrolled: 1-line block ×6, first 2 shown]
	v_mov_b32_e32 v45, v255
	v_mov_b32_e32 v255, v236
	;; [unrolled: 1-line block ×3, first 2 shown]
	v_add_f64 v[30:31], v[92:93], v[30:31]
	v_add_f64 v[38:39], v[38:39], v[40:41]
	v_fma_f64 v[40:41], v[4:5], s[6:7], -v[14:15]
	v_fma_f64 v[4:5], v[4:5], s[6:7], v[14:15]
	v_add_f64 v[6:7], v[92:93], v[6:7]
	v_add_f64 v[28:29], v[28:29], v[30:31]
	;; [unrolled: 1-line block ×3, first 2 shown]
	v_fma_f64 v[38:39], v[241:242], s[0:1], -v[12:13]
	v_add_f64 v[40:41], v[40:41], v[42:43]
	v_add_f64 v[4:5], v[4:5], v[6:7]
	;; [unrolled: 1-line block ×3, first 2 shown]
	v_mul_f64 v[28:29], v[249:250], s[14:15]
	v_add_f64 v[38:39], v[38:39], v[40:41]
	v_add_f64 v[24:25], v[24:25], v[26:27]
	v_fma_f64 v[30:31], v[243:244], s[4:5], v[28:29]
	v_add_f64 v[22:23], v[22:23], v[24:25]
	v_mul_f64 v[24:25], v[74:75], s[18:19]
	v_add_f64 v[30:31], v[30:31], v[34:35]
	v_fma_f64 v[34:35], v[239:240], s[4:5], -v[10:11]
	v_add_f64 v[160:161], v[18:19], v[22:23]
	v_mul_f64 v[18:19], v[49:50], s[26:27]
	v_fma_f64 v[26:27], v[182:183], s[12:13], v[24:25]
	v_add_f64 v[34:35], v[34:35], v[38:39]
	v_fma_f64 v[24:25], v[182:183], s[12:13], -v[24:25]
	v_fma_f64 v[22:23], v[180:181], s[24:25], v[18:19]
	v_add_f64 v[26:27], v[26:27], v[30:31]
	v_fma_f64 v[30:31], v[237:238], s[12:13], -v[8:9]
	v_fma_f64 v[18:19], v[180:181], s[24:25], -v[18:19]
	v_add_f64 v[166:167], v[22:23], v[26:27]
	v_mul_f64 v[22:23], v[164:165], s[26:27]
	v_add_f64 v[30:31], v[30:31], v[34:35]
	v_fma_f64 v[26:27], v[0:1], s[24:25], -v[22:23]
	v_fma_f64 v[0:1], v[0:1], s[24:25], v[22:23]
	v_add_f64 v[164:165], v[26:27], v[30:31]
	v_fma_f64 v[30:31], v[210:211], s[6:7], -v[36:37]
	v_fma_f64 v[26:27], v[243:244], s[4:5], -v[28:29]
	;; [unrolled: 1-line block ×3, first 2 shown]
	v_add_f64 v[2:3], v[30:31], v[2:3]
	v_add_f64 v[2:3], v[28:29], v[2:3]
	;; [unrolled: 1-line block ×5, first 2 shown]
	v_fma_f64 v[2:3], v[237:238], s[12:13], v[8:9]
	v_fma_f64 v[8:9], v[239:240], s[4:5], v[10:11]
	;; [unrolled: 1-line block ×3, first 2 shown]
	s_clause 0x1
	buffer_load_dword v238, off, s[48:51], 0 offset:204
	buffer_load_dword v237, off, s[48:51], 0 offset:200
	v_add_nc_u32_e32 v240, 0x9c0, v20
	v_add_nc_u32_e32 v239, 0xea0, v20
	v_add_f64 v[4:5], v[10:11], v[4:5]
	v_add_f64 v[4:5], v[8:9], v[4:5]
	;; [unrolled: 1-line block ×5, first 2 shown]
	s_clause 0x1
	buffer_load_dword v2, off, s[48:51], 0 offset:256
	buffer_load_dword v3, off, s[48:51], 0 offset:260
	v_add_f64 v[0:1], v[0:1], v[218:219]
	v_add_f64 v[0:1], v[0:1], v[216:217]
	;; [unrolled: 1-line block ×16, first 2 shown]
	s_waitcnt vmcnt(0)
	v_add_f64 v[0:1], v[0:1], v[2:3]
	s_clause 0x1
	buffer_load_dword v2, off, s[48:51], 0 offset:248
	buffer_load_dword v3, off, s[48:51], 0 offset:252
	s_waitcnt vmcnt(0)
	v_add_f64 v[0:1], v[0:1], v[2:3]
	s_clause 0x1
	buffer_load_dword v2, off, s[48:51], 0 offset:240
	buffer_load_dword v3, off, s[48:51], 0 offset:244
	;; [unrolled: 5-line block ×3, first 2 shown]
	v_add_f64 v[0:1], v[0:1], v[212:213]
	s_waitcnt vmcnt(0)
	v_add_f64 v[0:1], v[0:1], v[2:3]
	s_clause 0x1
	buffer_load_dword v2, off, s[48:51], 0 offset:224
	buffer_load_dword v3, off, s[48:51], 0 offset:228
	s_waitcnt vmcnt(0)
	v_add_f64 v[0:1], v[0:1], v[2:3]
	v_add_f64 v[92:93], v[0:1], v[196:197]
	buffer_load_dword v1, off, s[48:51], 0 offset:264 ; 4-byte Folded Reload
	v_mul_u32_u24_e32 v0, 52, v73
	v_or_b32_e32 v0, v0, v72
	s_waitcnt vmcnt(0)
	v_lshl_add_u32 v0, v0, 4, v1
	ds_write_b128 v0, v[92:95]
	ds_write_b128 v0, v[180:183] offset:64
	ds_write_b128 v0, v[160:163] offset:128
	;; [unrolled: 1-line block ×6, first 2 shown]
	s_clause 0x3
	buffer_load_dword v1, off, s[48:51], 0 offset:208
	buffer_load_dword v2, off, s[48:51], 0 offset:212
	;; [unrolled: 1-line block ×4, first 2 shown]
	s_waitcnt vmcnt(0)
	ds_write_b128 v0, v[1:4] offset:448
	ds_write_b128 v0, v[108:111] offset:512
	;; [unrolled: 1-line block ×6, first 2 shown]
.LBB0_9:
	s_or_b32 exec_lo, exec_lo, s33
	s_waitcnt lgkmcnt(0)
	s_waitcnt_vscnt null, 0x0
	s_barrier
	buffer_gl0_inv
	ds_read_b128 v[0:3], v20 offset:7488
	ds_read_b128 v[4:7], v20 offset:8736
	;; [unrolled: 1-line block ×6, first 2 shown]
	ds_read_b128 v[76:79], v20
	ds_read_b128 v[92:95], v20 offset:1248
	ds_read_b128 v[108:111], v20 offset:2496
	;; [unrolled: 1-line block ×3, first 2 shown]
	s_mov_b32 s0, 0xe8584caa
	s_mov_b32 s1, 0xbfebb67a
	;; [unrolled: 1-line block ×4, first 2 shown]
	s_mul_i32 s12, s9, 0x1d40
	s_mul_hi_u32 s13, s8, 0x1d40
	s_mul_i32 s14, s9, 0xffffe7a0
	s_mul_hi_u32 s15, s8, 0xffffe7a0
	s_mov_b32 s6, 0x11811812
	s_mov_b32 s7, 0x3f518118
	s_waitcnt lgkmcnt(9)
	v_mul_f64 v[21:22], v[247:248], v[2:3]
	v_mul_f64 v[23:24], v[247:248], v[0:1]
	s_waitcnt lgkmcnt(8)
	v_mul_f64 v[25:26], v[54:55], v[6:7]
	v_mul_f64 v[27:28], v[54:55], v[4:5]
	;; [unrolled: 3-line block ×6, first 2 shown]
	v_fma_f64 v[21:22], v[245:246], v[0:1], v[21:22]
	v_fma_f64 v[23:24], v[245:246], v[2:3], -v[23:24]
	v_fma_f64 v[25:26], v[52:53], v[4:5], v[25:26]
	v_fma_f64 v[27:28], v[52:53], v[6:7], -v[27:28]
	;; [unrolled: 2-line block ×5, first 2 shown]
	v_fma_f64 v[41:42], v[68:69], v[72:73], v[41:42]
	ds_read_b128 v[0:3], v20 offset:4992
	ds_read_b128 v[4:7], v20 offset:6240
	v_fma_f64 v[43:44], v[68:69], v[74:75], -v[43:44]
	s_waitcnt lgkmcnt(0)
	s_barrier
	buffer_gl0_inv
	v_add_f64 v[8:9], v[76:77], -v[21:22]
	v_add_f64 v[10:11], v[78:79], -v[23:24]
	;; [unrolled: 1-line block ×12, first 2 shown]
	v_fma_f64 v[60:61], v[76:77], 2.0, -v[8:9]
	v_fma_f64 v[62:63], v[78:79], 2.0, -v[10:11]
	v_fma_f64 v[64:65], v[92:93], 2.0, -v[12:13]
	v_fma_f64 v[66:67], v[94:95], 2.0, -v[14:15]
	v_fma_f64 v[68:69], v[108:109], 2.0, -v[16:17]
	v_fma_f64 v[70:71], v[110:111], 2.0, -v[18:19]
	v_fma_f64 v[72:73], v[112:113], 2.0, -v[48:49]
	v_fma_f64 v[74:75], v[114:115], 2.0, -v[50:51]
	v_fma_f64 v[0:1], v[0:1], 2.0, -v[52:53]
	v_fma_f64 v[2:3], v[2:3], 2.0, -v[54:55]
	v_fma_f64 v[4:5], v[4:5], 2.0, -v[56:57]
	v_fma_f64 v[6:7], v[6:7], 2.0, -v[58:59]
	ds_write_b128 v186, v[8:11] offset:832
	ds_write_b128 v186, v[60:63]
	ds_write_b128 v185, v[64:67]
	ds_write_b128 v185, v[12:15] offset:832
	ds_write_b128 v184, v[68:71]
	ds_write_b128 v184, v[16:19] offset:832
	;; [unrolled: 2-line block ×5, first 2 shown]
	s_waitcnt lgkmcnt(0)
	s_barrier
	buffer_gl0_inv
	ds_read_b128 v[0:3], v20 offset:4992
	ds_read_b128 v[4:7], v20 offset:9984
	;; [unrolled: 1-line block ×8, first 2 shown]
	s_waitcnt lgkmcnt(7)
	v_mul_f64 v[21:22], v[82:83], v[2:3]
	v_mul_f64 v[23:24], v[82:83], v[0:1]
	s_waitcnt lgkmcnt(6)
	v_mul_f64 v[25:26], v[86:87], v[6:7]
	v_mul_f64 v[27:28], v[86:87], v[4:5]
	;; [unrolled: 3-line block ×6, first 2 shown]
	s_waitcnt lgkmcnt(1)
	v_mul_f64 v[45:46], v[126:127], v[54:55]
	s_waitcnt lgkmcnt(0)
	v_mul_f64 v[60:61], v[154:155], v[58:59]
	v_mul_f64 v[62:63], v[126:127], v[52:53]
	;; [unrolled: 1-line block ×3, first 2 shown]
	v_fma_f64 v[21:22], v[80:81], v[0:1], v[21:22]
	v_fma_f64 v[23:24], v[80:81], v[2:3], -v[23:24]
	v_fma_f64 v[25:26], v[84:85], v[4:5], v[25:26]
	v_fma_f64 v[27:28], v[84:85], v[6:7], -v[27:28]
	;; [unrolled: 2-line block ×6, first 2 shown]
	v_fma_f64 v[41:42], v[124:125], v[52:53], v[45:46]
	v_fma_f64 v[43:44], v[152:153], v[56:57], v[60:61]
	v_fma_f64 v[45:46], v[124:125], v[54:55], -v[62:63]
	v_fma_f64 v[47:48], v[152:153], v[58:59], -v[64:65]
	ds_read_b128 v[0:3], v20
	ds_read_b128 v[4:7], v20 offset:1248
	ds_read_b128 v[8:11], v20 offset:2496
	;; [unrolled: 1-line block ×3, first 2 shown]
	s_waitcnt lgkmcnt(0)
	s_barrier
	buffer_gl0_inv
	v_add_f64 v[49:50], v[21:22], v[25:26]
	v_add_f64 v[51:52], v[23:24], v[27:28]
	v_add_f64 v[63:64], v[23:24], -v[27:28]
	v_add_f64 v[53:54], v[29:30], v[33:34]
	v_add_f64 v[55:56], v[31:32], v[35:36]
	v_add_f64 v[57:58], v[16:17], v[37:38]
	v_add_f64 v[61:62], v[18:19], v[39:40]
	v_add_f64 v[83:84], v[18:19], -v[39:40]
	v_add_f64 v[65:66], v[41:42], v[43:44]
	v_add_f64 v[59:60], v[0:1], v[21:22]
	;; [unrolled: 5-line block ×3, first 2 shown]
	v_add_f64 v[71:72], v[6:7], v[31:32]
	v_add_f64 v[31:32], v[31:32], -v[35:36]
	v_add_f64 v[29:30], v[29:30], -v[33:34]
	v_add_f64 v[73:74], v[8:9], v[16:17]
	v_fma_f64 v[49:50], v[49:50], -0.5, v[0:1]
	v_fma_f64 v[51:52], v[51:52], -0.5, v[2:3]
	v_add_f64 v[75:76], v[10:11], v[18:19]
	v_add_f64 v[87:88], v[16:17], -v[37:38]
	v_fma_f64 v[81:82], v[53:54], -0.5, v[4:5]
	v_fma_f64 v[85:86], v[55:56], -0.5, v[6:7]
	v_add_f64 v[77:78], v[12:13], v[41:42]
	v_add_f64 v[45:46], v[45:46], -v[47:48]
	v_fma_f64 v[89:90], v[57:58], -0.5, v[8:9]
	v_fma_f64 v[91:92], v[61:62], -0.5, v[10:11]
	v_add_f64 v[41:42], v[41:42], -v[43:44]
	v_fma_f64 v[93:94], v[65:66], -0.5, v[12:13]
	v_add_f64 v[0:1], v[59:60], v[25:26]
	v_fma_f64 v[25:26], v[67:68], -0.5, v[14:15]
	v_add_f64 v[2:3], v[23:24], v[27:28]
	v_mad_u64_u32 v[23:24], null, s8, v255, 0
	v_add_f64 v[14:15], v[79:80], v[47:48]
	v_add_f64 v[4:5], v[69:70], v[33:34]
	;; [unrolled: 1-line block ×4, first 2 shown]
	v_fma_f64 v[16:17], v[63:64], s[0:1], v[49:50]
	v_fma_f64 v[18:19], v[21:22], s[4:5], v[51:52]
	;; [unrolled: 1-line block ×8, first 2 shown]
	v_add_f64 v[10:11], v[75:76], v[39:40]
	v_fma_f64 v[60:61], v[83:84], s[0:1], v[89:90]
	v_fma_f64 v[62:63], v[87:88], s[4:5], v[91:92]
	;; [unrolled: 1-line block ×4, first 2 shown]
	v_add_f64 v[12:13], v[77:78], v[43:44]
	v_fma_f64 v[68:69], v[45:46], s[0:1], v[93:94]
	v_fma_f64 v[70:71], v[41:42], s[4:5], v[25:26]
	;; [unrolled: 1-line block ×4, first 2 shown]
	ds_write_b128 v20, v[0:3]
	ds_write_b128 v20, v[16:19] offset:1664
	ds_write_b128 v20, v[48:51] offset:3328
	ds_write_b128 v187, v[4:7]
	ds_write_b128 v187, v[52:55] offset:1664
	ds_write_b128 v187, v[56:59] offset:3328
	;; [unrolled: 3-line block ×3, first 2 shown]
	ds_write_b128 v237, v[12:15] offset:9984
	ds_write_b128 v237, v[68:71] offset:11648
	;; [unrolled: 1-line block ×3, first 2 shown]
	s_waitcnt lgkmcnt(0)
	s_barrier
	buffer_gl0_inv
	ds_read_b128 v[0:3], v20 offset:4992
	ds_read_b128 v[4:7], v20 offset:9984
	s_clause 0x1
	buffer_load_dword v8, off, s[48:51], 0 offset:192
	buffer_load_dword v9, off, s[48:51], 0 offset:196
	s_waitcnt lgkmcnt(1)
	v_mul_f64 v[25:26], v[102:103], v[2:3]
	v_mul_f64 v[27:28], v[102:103], v[0:1]
	s_waitcnt lgkmcnt(0)
	v_mul_f64 v[29:30], v[106:107], v[6:7]
	v_mul_f64 v[31:32], v[106:107], v[4:5]
	v_fma_f64 v[27:28], v[100:101], v[2:3], -v[27:28]
	v_fma_f64 v[29:30], v[104:105], v[4:5], v[29:30]
	v_fma_f64 v[31:32], v[104:105], v[6:7], -v[31:32]
	s_waitcnt vmcnt(1)
	v_mov_b32_e32 v47, v8
	s_waitcnt vmcnt(0)
	ds_read_b128 v[8:11], v20 offset:6240
	ds_read_b128 v[12:15], v20 offset:11232
	;; [unrolled: 1-line block ×6, first 2 shown]
	v_mad_u64_u32 v[21:22], null, s10, v47, 0
	ds_read_b128 v[4:7], v20 offset:1248
	s_mul_i32 s10, s8, 0x1d40
	v_mad_u64_u32 v[70:71], null, s11, v47, v[22:23]
	v_mad_u64_u32 v[71:72], null, s9, v255, v[24:25]
	v_fma_f64 v[25:26], v[100:101], v[0:1], v[25:26]
	ds_read_b128 v[0:3], v20
	s_waitcnt lgkmcnt(7)
	v_mul_f64 v[33:34], v[142:143], v[10:11]
	v_mul_f64 v[35:36], v[142:143], v[8:9]
	s_waitcnt lgkmcnt(6)
	v_mul_f64 v[37:38], v[150:151], v[14:15]
	v_mul_f64 v[39:40], v[150:151], v[12:13]
	;; [unrolled: 3-line block ×4, first 2 shown]
	v_mul_f64 v[62:63], v[178:179], v[54:55]
	v_mul_f64 v[64:65], v[178:179], v[52:53]
	s_waitcnt lgkmcnt(2)
	v_mul_f64 v[66:67], v[190:191], v[58:59]
	v_mul_f64 v[68:69], v[190:191], v[56:57]
	v_mov_b32_e32 v22, v70
	v_mov_b32_e32 v24, v71
	s_add_i32 s9, s13, s12
	s_mul_i32 s11, s8, 0xffffe7a0
	v_lshlrev_b64 v[21:22], 4, v[21:22]
	v_lshlrev_b64 v[23:24], 4, v[23:24]
	v_fma_f64 v[33:34], v[140:141], v[8:9], v[33:34]
	v_fma_f64 v[35:36], v[140:141], v[10:11], -v[35:36]
	v_fma_f64 v[37:38], v[148:149], v[12:13], v[37:38]
	v_fma_f64 v[39:40], v[148:149], v[14:15], -v[39:40]
	;; [unrolled: 2-line block ×6, first 2 shown]
	v_add_f64 v[53:54], v[25:26], v[29:30]
	v_add_f64 v[55:56], v[27:28], v[31:32]
	ds_read_b128 v[8:11], v20 offset:2496
	ds_read_b128 v[12:15], v20 offset:3744
	v_add_co_u32 v93, vcc_lo, s2, v21
	v_add_co_ci_u32_e32 v94, vcc_lo, s3, v22, vcc_lo
	s_waitcnt lgkmcnt(2)
	v_add_f64 v[61:62], v[0:1], v[25:26]
	v_add_f64 v[65:66], v[27:28], -v[31:32]
	v_add_f64 v[27:28], v[2:3], v[27:28]
	v_add_f64 v[25:26], v[25:26], -v[29:30]
	v_add_f64 v[71:72], v[4:5], v[33:34]
	v_add_f64 v[57:58], v[33:34], v[37:38]
	;; [unrolled: 1-line block ×4, first 2 shown]
	v_add_f64 v[35:36], v[35:36], -v[39:40]
	v_add_f64 v[21:22], v[16:17], v[41:42]
	v_add_f64 v[63:64], v[18:19], v[43:44]
	v_add_f64 v[33:34], v[33:34], -v[37:38]
	v_add_f64 v[83:84], v[18:19], -v[43:44]
	v_add_f64 v[67:68], v[45:46], v[47:48]
	v_add_f64 v[69:70], v[49:50], v[51:52]
	v_fma_f64 v[53:54], v[53:54], -0.5, v[0:1]
	v_fma_f64 v[55:56], v[55:56], -0.5, v[2:3]
	s_waitcnt lgkmcnt(0)
	v_add_f64 v[79:80], v[12:13], v[45:46]
	v_add_f64 v[81:82], v[14:15], v[49:50]
	;; [unrolled: 1-line block ×4, first 2 shown]
	v_add_f64 v[85:86], v[16:17], -v[41:42]
	v_add_f64 v[87:88], v[49:50], -v[51:52]
	;; [unrolled: 1-line block ×3, first 2 shown]
	v_add_f64 v[0:1], v[61:62], v[29:30]
	v_add_f64 v[2:3], v[27:28], v[31:32]
	v_add_co_u32 v28, vcc_lo, v93, v23
	v_fma_f64 v[57:58], v[57:58], -0.5, v[4:5]
	v_fma_f64 v[59:60], v[59:60], -0.5, v[6:7]
	v_add_f64 v[4:5], v[71:72], v[37:38]
	v_fma_f64 v[21:22], v[21:22], -0.5, v[8:9]
	v_fma_f64 v[89:90], v[63:64], -0.5, v[10:11]
	v_add_f64 v[6:7], v[73:74], v[39:40]
	v_fma_f64 v[91:92], v[67:68], -0.5, v[12:13]
	v_fma_f64 v[29:30], v[69:70], -0.5, v[14:15]
	v_fma_f64 v[16:17], v[65:66], s[0:1], v[53:54]
	v_fma_f64 v[18:19], v[25:26], s[4:5], v[55:56]
	v_add_f64 v[12:13], v[79:80], v[47:48]
	v_add_f64 v[14:15], v[81:82], v[51:52]
	v_fma_f64 v[48:49], v[65:66], s[4:5], v[53:54]
	v_fma_f64 v[50:51], v[25:26], s[0:1], v[55:56]
	v_add_f64 v[8:9], v[75:76], v[41:42]
	v_add_f64 v[10:11], v[77:78], v[43:44]
	v_fma_f64 v[52:53], v[35:36], s[0:1], v[57:58]
	v_fma_f64 v[54:55], v[33:34], s[4:5], v[59:60]
	;; [unrolled: 1-line block ×12, first 2 shown]
	ds_write_b128 v20, v[0:3]
	ds_write_b128 v20, v[16:19] offset:4992
	ds_write_b128 v238, v[48:51] offset:9984
	ds_write_b128 v20, v[4:7] offset:1248
	ds_write_b128 v238, v[52:55] offset:6240
	ds_write_b128 v238, v[56:59] offset:11232
	ds_write_b128 v20, v[8:11] offset:2496
	ds_write_b128 v240, v[60:63] offset:4992
	ds_write_b128 v240, v[64:67] offset:9984
	ds_write_b128 v20, v[12:15] offset:3744
	ds_write_b128 v239, v[68:71] offset:4992
	ds_write_b128 v239, v[72:75] offset:9984
	s_waitcnt lgkmcnt(0)
	s_barrier
	buffer_gl0_inv
	ds_read_b128 v[0:3], v20
	ds_read_b128 v[4:7], v20 offset:7488
	ds_read_b128 v[8:11], v20 offset:1248
	;; [unrolled: 1-line block ×8, first 2 shown]
	s_clause 0x3
	buffer_load_dword v96, off, s[48:51], 0
	buffer_load_dword v97, off, s[48:51], 0 offset:4
	buffer_load_dword v98, off, s[48:51], 0 offset:8
	;; [unrolled: 1-line block ×3, first 2 shown]
	v_add_co_ci_u32_e32 v29, vcc_lo, v94, v24, vcc_lo
	s_clause 0x3
	buffer_load_dword v120, off, s[48:51], 0 offset:144
	buffer_load_dword v121, off, s[48:51], 0 offset:148
	;; [unrolled: 1-line block ×4, first 2 shown]
	v_add_co_u32 v30, vcc_lo, v28, s10
	v_add_co_ci_u32_e32 v31, vcc_lo, s9, v29, vcc_lo
	s_sub_i32 s0, s15, s8
	v_add_co_u32 v32, vcc_lo, v30, s11
	s_add_i32 s0, s0, s14
	v_add_co_ci_u32_e32 v33, vcc_lo, s0, v31, vcc_lo
	v_add_co_u32 v34, vcc_lo, v32, s10
	v_add_co_ci_u32_e32 v35, vcc_lo, s9, v33, vcc_lo
	v_add_co_u32 v36, vcc_lo, v34, s11
	;; [unrolled: 2-line block ×3, first 2 shown]
	v_add_co_ci_u32_e32 v75, vcc_lo, s9, v37, vcc_lo
	s_waitcnt vmcnt(4) lgkmcnt(8)
	v_mul_f64 v[24:25], v[98:99], v[2:3]
	v_mul_f64 v[26:27], v[98:99], v[0:1]
	s_clause 0x7
	buffer_load_dword v98, off, s[48:51], 0 offset:16
	buffer_load_dword v99, off, s[48:51], 0 offset:20
	;; [unrolled: 1-line block ×8, first 2 shown]
	ds_read_b128 v[64:67], v20 offset:6240
	ds_read_b128 v[68:71], v20 offset:12480
	;; [unrolled: 1-line block ×3, first 2 shown]
	s_clause 0x3
	buffer_load_dword v110, off, s[48:51], 0 offset:80
	buffer_load_dword v111, off, s[48:51], 0 offset:84
	;; [unrolled: 1-line block ×4, first 2 shown]
	s_waitcnt vmcnt(12) lgkmcnt(10)
	v_mul_f64 v[38:39], v[122:123], v[6:7]
	v_mul_f64 v[40:41], v[122:123], v[4:5]
	v_fma_f64 v[0:1], v[96:97], v[0:1], v[24:25]
	v_fma_f64 v[2:3], v[96:97], v[2:3], -v[26:27]
	v_fma_f64 v[4:5], v[120:121], v[4:5], v[38:39]
	v_fma_f64 v[6:7], v[120:121], v[6:7], -v[40:41]
	v_mul_f64 v[0:1], v[0:1], s[6:7]
	v_mul_f64 v[2:3], v[2:3], s[6:7]
	;; [unrolled: 1-line block ×4, first 2 shown]
	s_waitcnt vmcnt(8) lgkmcnt(9)
	v_mul_f64 v[42:43], v[100:101], v[10:11]
	v_mul_f64 v[44:45], v[100:101], v[8:9]
	s_clause 0x3
	buffer_load_dword v100, off, s[48:51], 0 offset:32
	buffer_load_dword v101, off, s[48:51], 0 offset:36
	;; [unrolled: 1-line block ×4, first 2 shown]
	s_waitcnt vmcnt(4) lgkmcnt(7)
	v_mul_f64 v[76:77], v[112:113], v[18:19]
	v_mul_f64 v[78:79], v[112:113], v[16:17]
	s_clause 0x3
	buffer_load_dword v106, off, s[48:51], 0 offset:64
	buffer_load_dword v107, off, s[48:51], 0 offset:68
	;; [unrolled: 1-line block ×4, first 2 shown]
	v_mul_f64 v[46:47], v[118:119], v[14:15]
	v_mul_f64 v[72:73], v[118:119], v[12:13]
	v_fma_f64 v[8:9], v[98:99], v[8:9], v[42:43]
	v_fma_f64 v[10:11], v[98:99], v[10:11], -v[44:45]
	v_fma_f64 v[16:17], v[110:111], v[16:17], v[76:77]
	v_fma_f64 v[18:19], v[110:111], v[18:19], -v[78:79]
	;; [unrolled: 2-line block ×3, first 2 shown]
	v_mul_f64 v[8:9], v[8:9], s[6:7]
	v_mul_f64 v[10:11], v[10:11], s[6:7]
	;; [unrolled: 1-line block ×6, first 2 shown]
	s_waitcnt vmcnt(4) lgkmcnt(5)
	v_mul_f64 v[80:81], v[102:103], v[54:55]
	v_mul_f64 v[82:83], v[102:103], v[52:53]
	s_clause 0xb
	buffer_load_dword v102, off, s[48:51], 0 offset:48
	buffer_load_dword v103, off, s[48:51], 0 offset:52
	;; [unrolled: 1-line block ×12, first 2 shown]
	s_waitcnt vmcnt(12)
	v_mul_f64 v[84:85], v[108:109], v[50:51]
	v_mul_f64 v[86:87], v[108:109], v[48:49]
	v_fma_f64 v[46:47], v[100:101], v[52:53], v[80:81]
	v_fma_f64 v[52:53], v[100:101], v[54:55], -v[82:83]
	v_fma_f64 v[48:49], v[106:107], v[48:49], v[84:85]
	v_fma_f64 v[50:51], v[106:107], v[50:51], -v[86:87]
	s_waitcnt vmcnt(8) lgkmcnt(4)
	v_mul_f64 v[88:89], v[104:105], v[58:59]
	s_waitcnt vmcnt(4) lgkmcnt(3)
	v_mul_f64 v[92:93], v[114:115], v[62:63]
	v_mul_f64 v[94:95], v[114:115], v[60:61]
	s_clause 0x3
	buffer_load_dword v114, off, s[48:51], 0 offset:160
	buffer_load_dword v115, off, s[48:51], 0 offset:164
	;; [unrolled: 1-line block ×4, first 2 shown]
	v_mul_f64 v[90:91], v[104:105], v[56:57]
	s_waitcnt vmcnt(4) lgkmcnt(1)
	v_mul_f64 v[24:25], v[98:99], v[70:71]
	v_mul_f64 v[26:27], v[98:99], v[68:69]
	v_fma_f64 v[54:55], v[102:103], v[56:57], v[88:89]
	v_fma_f64 v[60:61], v[112:113], v[60:61], v[92:93]
	v_fma_f64 v[62:63], v[112:113], v[62:63], -v[94:95]
	v_fma_f64 v[56:57], v[102:103], v[58:59], -v[90:91]
	v_fma_f64 v[68:69], v[96:97], v[68:69], v[24:25]
	v_fma_f64 v[70:71], v[96:97], v[70:71], -v[26:27]
	v_add_co_u32 v58, vcc_lo, v74, s11
	v_add_co_ci_u32_e32 v59, vcc_lo, s0, v75, vcc_lo
	v_mul_f64 v[24:25], v[48:49], s[6:7]
	v_mul_f64 v[26:27], v[50:51], s[6:7]
	s_waitcnt vmcnt(0)
	v_mul_f64 v[38:39], v[116:117], v[66:67]
	v_mul_f64 v[40:41], v[116:117], v[64:65]
	s_clause 0x3
	buffer_load_dword v116, off, s[48:51], 0 offset:176
	buffer_load_dword v117, off, s[48:51], 0 offset:180
	;; [unrolled: 1-line block ×4, first 2 shown]
	global_store_dwordx4 v[28:29], v[0:3], off
	global_store_dwordx4 v[30:31], v[4:7], off
	;; [unrolled: 1-line block ×4, first 2 shown]
	v_add_co_u32 v32, vcc_lo, v58, s10
	v_mul_f64 v[0:1], v[54:55], s[6:7]
	v_mul_f64 v[2:3], v[56:57], s[6:7]
	v_add_co_ci_u32_e32 v33, vcc_lo, s9, v59, vcc_lo
	v_mul_f64 v[4:5], v[60:61], s[6:7]
	v_mul_f64 v[6:7], v[62:63], s[6:7]
	;; [unrolled: 1-line block ×4, first 2 shown]
	v_add_co_u32 v34, vcc_lo, v32, s11
	v_add_co_ci_u32_e32 v35, vcc_lo, s0, v33, vcc_lo
	global_store_dwordx4 v[36:37], v[16:19], off
	v_add_co_u32 v16, vcc_lo, v34, s10
	v_add_co_ci_u32_e32 v17, vcc_lo, s9, v35, vcc_lo
	v_fma_f64 v[38:39], v[114:115], v[64:65], v[38:39]
	v_fma_f64 v[40:41], v[114:115], v[66:67], -v[40:41]
	v_add_co_u32 v18, vcc_lo, v16, s11
	v_add_co_ci_u32_e32 v19, vcc_lo, s0, v17, vcc_lo
	v_mul_f64 v[12:13], v[38:39], s[6:7]
	v_mul_f64 v[14:15], v[40:41], s[6:7]
	s_waitcnt vmcnt(0) lgkmcnt(0)
	v_mul_f64 v[42:43], v[118:119], v[22:23]
	v_mul_f64 v[44:45], v[118:119], v[20:21]
	v_fma_f64 v[42:43], v[116:117], v[20:21], v[42:43]
	v_fma_f64 v[44:45], v[116:117], v[22:23], -v[44:45]
	v_mul_f64 v[20:21], v[46:47], s[6:7]
	v_mul_f64 v[22:23], v[52:53], s[6:7]
	;; [unrolled: 1-line block ×4, first 2 shown]
	global_store_dwordx4 v[74:75], v[20:23], off
	v_add_co_u32 v20, vcc_lo, v18, s10
	v_add_co_ci_u32_e32 v21, vcc_lo, s9, v19, vcc_lo
	global_store_dwordx4 v[58:59], v[24:27], off
	global_store_dwordx4 v[32:33], v[0:3], off
	;; [unrolled: 1-line block ×6, first 2 shown]
.LBB0_10:
	s_endpgm
	.section	.rodata,"a",@progbits
	.p2align	6, 0x0
	.amdhsa_kernel bluestein_single_fwd_len936_dim1_dp_op_CI_CI
		.amdhsa_group_segment_fixed_size 44928
		.amdhsa_private_segment_fixed_size 272
		.amdhsa_kernarg_size 104
		.amdhsa_user_sgpr_count 6
		.amdhsa_user_sgpr_private_segment_buffer 1
		.amdhsa_user_sgpr_dispatch_ptr 0
		.amdhsa_user_sgpr_queue_ptr 0
		.amdhsa_user_sgpr_kernarg_segment_ptr 1
		.amdhsa_user_sgpr_dispatch_id 0
		.amdhsa_user_sgpr_flat_scratch_init 0
		.amdhsa_user_sgpr_private_segment_size 0
		.amdhsa_wavefront_size32 1
		.amdhsa_uses_dynamic_stack 0
		.amdhsa_system_sgpr_private_segment_wavefront_offset 1
		.amdhsa_system_sgpr_workgroup_id_x 1
		.amdhsa_system_sgpr_workgroup_id_y 0
		.amdhsa_system_sgpr_workgroup_id_z 0
		.amdhsa_system_sgpr_workgroup_info 0
		.amdhsa_system_vgpr_workitem_id 0
		.amdhsa_next_free_vgpr 256
		.amdhsa_next_free_sgpr 52
		.amdhsa_reserve_vcc 1
		.amdhsa_reserve_flat_scratch 0
		.amdhsa_float_round_mode_32 0
		.amdhsa_float_round_mode_16_64 0
		.amdhsa_float_denorm_mode_32 3
		.amdhsa_float_denorm_mode_16_64 3
		.amdhsa_dx10_clamp 1
		.amdhsa_ieee_mode 1
		.amdhsa_fp16_overflow 0
		.amdhsa_workgroup_processor_mode 1
		.amdhsa_memory_ordered 1
		.amdhsa_forward_progress 0
		.amdhsa_shared_vgpr_count 0
		.amdhsa_exception_fp_ieee_invalid_op 0
		.amdhsa_exception_fp_denorm_src 0
		.amdhsa_exception_fp_ieee_div_zero 0
		.amdhsa_exception_fp_ieee_overflow 0
		.amdhsa_exception_fp_ieee_underflow 0
		.amdhsa_exception_fp_ieee_inexact 0
		.amdhsa_exception_int_div_zero 0
	.end_amdhsa_kernel
	.text
.Lfunc_end0:
	.size	bluestein_single_fwd_len936_dim1_dp_op_CI_CI, .Lfunc_end0-bluestein_single_fwd_len936_dim1_dp_op_CI_CI
                                        ; -- End function
	.section	.AMDGPU.csdata,"",@progbits
; Kernel info:
; codeLenInByte = 22084
; NumSgprs: 54
; NumVgprs: 256
; ScratchSize: 272
; MemoryBound: 0
; FloatMode: 240
; IeeeMode: 1
; LDSByteSize: 44928 bytes/workgroup (compile time only)
; SGPRBlocks: 6
; VGPRBlocks: 31
; NumSGPRsForWavesPerEU: 54
; NumVGPRsForWavesPerEU: 256
; Occupancy: 4
; WaveLimiterHint : 1
; COMPUTE_PGM_RSRC2:SCRATCH_EN: 1
; COMPUTE_PGM_RSRC2:USER_SGPR: 6
; COMPUTE_PGM_RSRC2:TRAP_HANDLER: 0
; COMPUTE_PGM_RSRC2:TGID_X_EN: 1
; COMPUTE_PGM_RSRC2:TGID_Y_EN: 0
; COMPUTE_PGM_RSRC2:TGID_Z_EN: 0
; COMPUTE_PGM_RSRC2:TIDIG_COMP_CNT: 0
	.text
	.p2alignl 6, 3214868480
	.fill 48, 4, 3214868480
	.type	__hip_cuid_1f4e7d0ee5e7b6b9,@object ; @__hip_cuid_1f4e7d0ee5e7b6b9
	.section	.bss,"aw",@nobits
	.globl	__hip_cuid_1f4e7d0ee5e7b6b9
__hip_cuid_1f4e7d0ee5e7b6b9:
	.byte	0                               ; 0x0
	.size	__hip_cuid_1f4e7d0ee5e7b6b9, 1

	.ident	"AMD clang version 19.0.0git (https://github.com/RadeonOpenCompute/llvm-project roc-6.4.0 25133 c7fe45cf4b819c5991fe208aaa96edf142730f1d)"
	.section	".note.GNU-stack","",@progbits
	.addrsig
	.addrsig_sym __hip_cuid_1f4e7d0ee5e7b6b9
	.amdgpu_metadata
---
amdhsa.kernels:
  - .args:
      - .actual_access:  read_only
        .address_space:  global
        .offset:         0
        .size:           8
        .value_kind:     global_buffer
      - .actual_access:  read_only
        .address_space:  global
        .offset:         8
        .size:           8
        .value_kind:     global_buffer
      - .actual_access:  read_only
        .address_space:  global
        .offset:         16
        .size:           8
        .value_kind:     global_buffer
      - .actual_access:  read_only
        .address_space:  global
        .offset:         24
        .size:           8
        .value_kind:     global_buffer
      - .actual_access:  read_only
        .address_space:  global
        .offset:         32
        .size:           8
        .value_kind:     global_buffer
      - .offset:         40
        .size:           8
        .value_kind:     by_value
      - .address_space:  global
        .offset:         48
        .size:           8
        .value_kind:     global_buffer
      - .address_space:  global
        .offset:         56
        .size:           8
        .value_kind:     global_buffer
      - .address_space:  global
        .offset:         64
        .size:           8
        .value_kind:     global_buffer
      - .address_space:  global
        .offset:         72
        .size:           8
        .value_kind:     global_buffer
      - .offset:         80
        .size:           4
        .value_kind:     by_value
      - .address_space:  global
        .offset:         88
        .size:           8
        .value_kind:     global_buffer
      - .address_space:  global
        .offset:         96
        .size:           8
        .value_kind:     global_buffer
    .group_segment_fixed_size: 44928
    .kernarg_segment_align: 8
    .kernarg_segment_size: 104
    .language:       OpenCL C
    .language_version:
      - 2
      - 0
    .max_flat_workgroup_size: 234
    .name:           bluestein_single_fwd_len936_dim1_dp_op_CI_CI
    .private_segment_fixed_size: 272
    .sgpr_count:     54
    .sgpr_spill_count: 0
    .symbol:         bluestein_single_fwd_len936_dim1_dp_op_CI_CI.kd
    .uniform_work_group_size: 1
    .uses_dynamic_stack: false
    .vgpr_count:     256
    .vgpr_spill_count: 67
    .wavefront_size: 32
    .workgroup_processor_mode: 1
amdhsa.target:   amdgcn-amd-amdhsa--gfx1030
amdhsa.version:
  - 1
  - 2
...

	.end_amdgpu_metadata
